;; amdgpu-corpus repo=ROCm/rocSPARSE kind=compiled arch=gfx906 opt=O3
	.amdgcn_target "amdgcn-amd-amdhsa--gfx906"
	.amdhsa_code_object_version 6
	.section	.text._ZN9rocsparseL16ell2dense_kernelILi16ELi32EiDF16_EEv21rocsparse_index_base_T1_S2_S2_PKT2_PKS2_PS3_l16rocsparse_order_,"axG",@progbits,_ZN9rocsparseL16ell2dense_kernelILi16ELi32EiDF16_EEv21rocsparse_index_base_T1_S2_S2_PKT2_PKS2_PS3_l16rocsparse_order_,comdat
	.globl	_ZN9rocsparseL16ell2dense_kernelILi16ELi32EiDF16_EEv21rocsparse_index_base_T1_S2_S2_PKT2_PKS2_PS3_l16rocsparse_order_ ; -- Begin function _ZN9rocsparseL16ell2dense_kernelILi16ELi32EiDF16_EEv21rocsparse_index_base_T1_S2_S2_PKT2_PKS2_PS3_l16rocsparse_order_
	.p2align	8
	.type	_ZN9rocsparseL16ell2dense_kernelILi16ELi32EiDF16_EEv21rocsparse_index_base_T1_S2_S2_PKT2_PKS2_PS3_l16rocsparse_order_,@function
_ZN9rocsparseL16ell2dense_kernelILi16ELi32EiDF16_EEv21rocsparse_index_base_T1_S2_S2_PKT2_PKS2_PS3_l16rocsparse_order_: ; @_ZN9rocsparseL16ell2dense_kernelILi16ELi32EiDF16_EEv21rocsparse_index_base_T1_S2_S2_PKT2_PKS2_PS3_l16rocsparse_order_
; %bb.0:
	s_load_dwordx4 s[16:19], s[4:5], 0x0
	v_lshrrev_b32_e32 v1, 5, v0
	v_lshl_or_b32 v1, s6, 4, v1
	s_waitcnt lgkmcnt(0)
	v_cmp_gt_u32_e32 vcc, s19, v1
	s_and_saveexec_b64 s[0:1], vcc
	s_cbranch_execz .LBB0_6
; %bb.1:
	v_and_b32_e32 v2, 31, v0
	v_cmp_gt_i32_e32 vcc, s17, v2
	s_and_b64 exec, exec, vcc
	s_cbranch_execz .LBB0_6
; %bb.2:
	s_load_dword s0, s[4:5], 0x30
	s_load_dwordx8 s[8:15], s[4:5], 0x10
	v_mul_lo_u32 v3, s17, v1
	s_mov_b64 s[4:5], 0
	v_mov_b32_e32 v1, 0
	s_waitcnt lgkmcnt(0)
	s_cmp_eq_u32 s0, 1
	s_cselect_b64 vcc, -1, 0
	v_mov_b32_e32 v4, s11
	s_branch .LBB0_4
.LBB0_3:                                ;   in Loop: Header=BB0_4 Depth=1
	s_or_b64 exec, exec, s[2:3]
	v_add_u32_e32 v2, 32, v2
	v_cmp_le_i32_e64 s[0:1], s17, v2
	s_or_b64 s[4:5], s[0:1], s[4:5]
	s_andn2_b64 exec, exec, s[4:5]
	s_cbranch_execz .LBB0_6
.LBB0_4:                                ; =>This Inner Loop Header: Depth=1
	v_add_u32_e32 v0, v3, v2
	v_lshlrev_b64 v[5:6], 2, v[0:1]
	v_add_co_u32_e64 v5, s[0:1], s10, v5
	v_addc_co_u32_e64 v6, s[0:1], v4, v6, s[0:1]
	global_load_dword v5, v[5:6], off
	s_waitcnt vmcnt(0)
	v_subrev_u32_e32 v5, s16, v5
	v_cmp_lt_i32_e64 s[0:1], -1, v5
	v_cmp_gt_i32_e64 s[2:3], s18, v5
	s_and_b64 s[0:1], s[0:1], s[2:3]
	s_and_saveexec_b64 s[2:3], s[0:1]
	s_cbranch_execz .LBB0_3
; %bb.5:                                ;   in Loop: Header=BB0_4 Depth=1
	v_lshlrev_b64 v[6:7], 1, v[0:1]
	v_mov_b32_e32 v0, s9
	v_add_co_u32_e64 v6, s[0:1], s8, v6
	v_addc_co_u32_e64 v7, s[0:1], v0, v7, s[0:1]
	global_load_ushort v9, v[6:7], off
	v_cndmask_b32_e32 v8, v2, v5, vcc
	v_mad_u64_u32 v[6:7], s[0:1], s14, v8, 0
	v_mov_b32_e32 v0, v7
	v_mad_u64_u32 v[7:8], s[0:1], s15, v8, v[0:1]
	v_cndmask_b32_e32 v0, v5, v2, vcc
	v_lshlrev_b64 v[5:6], 1, v[6:7]
	v_mov_b32_e32 v7, s13
	v_add_co_u32_e64 v8, s[0:1], s12, v5
	v_addc_co_u32_e64 v7, s[0:1], v7, v6, s[0:1]
	v_lshlrev_b64 v[5:6], 1, v[0:1]
	v_add_co_u32_e64 v5, s[0:1], v8, v5
	v_addc_co_u32_e64 v6, s[0:1], v7, v6, s[0:1]
	s_waitcnt vmcnt(0)
	global_store_short v[5:6], v9, off
	s_branch .LBB0_3
.LBB0_6:
	s_endpgm
	.section	.rodata,"a",@progbits
	.p2align	6, 0x0
	.amdhsa_kernel _ZN9rocsparseL16ell2dense_kernelILi16ELi32EiDF16_EEv21rocsparse_index_base_T1_S2_S2_PKT2_PKS2_PS3_l16rocsparse_order_
		.amdhsa_group_segment_fixed_size 0
		.amdhsa_private_segment_fixed_size 0
		.amdhsa_kernarg_size 52
		.amdhsa_user_sgpr_count 6
		.amdhsa_user_sgpr_private_segment_buffer 1
		.amdhsa_user_sgpr_dispatch_ptr 0
		.amdhsa_user_sgpr_queue_ptr 0
		.amdhsa_user_sgpr_kernarg_segment_ptr 1
		.amdhsa_user_sgpr_dispatch_id 0
		.amdhsa_user_sgpr_flat_scratch_init 0
		.amdhsa_user_sgpr_private_segment_size 0
		.amdhsa_uses_dynamic_stack 0
		.amdhsa_system_sgpr_private_segment_wavefront_offset 0
		.amdhsa_system_sgpr_workgroup_id_x 1
		.amdhsa_system_sgpr_workgroup_id_y 0
		.amdhsa_system_sgpr_workgroup_id_z 0
		.amdhsa_system_sgpr_workgroup_info 0
		.amdhsa_system_vgpr_workitem_id 0
		.amdhsa_next_free_vgpr 10
		.amdhsa_next_free_sgpr 20
		.amdhsa_reserve_vcc 1
		.amdhsa_reserve_flat_scratch 0
		.amdhsa_float_round_mode_32 0
		.amdhsa_float_round_mode_16_64 0
		.amdhsa_float_denorm_mode_32 3
		.amdhsa_float_denorm_mode_16_64 3
		.amdhsa_dx10_clamp 1
		.amdhsa_ieee_mode 1
		.amdhsa_fp16_overflow 0
		.amdhsa_exception_fp_ieee_invalid_op 0
		.amdhsa_exception_fp_denorm_src 0
		.amdhsa_exception_fp_ieee_div_zero 0
		.amdhsa_exception_fp_ieee_overflow 0
		.amdhsa_exception_fp_ieee_underflow 0
		.amdhsa_exception_fp_ieee_inexact 0
		.amdhsa_exception_int_div_zero 0
	.end_amdhsa_kernel
	.section	.text._ZN9rocsparseL16ell2dense_kernelILi16ELi32EiDF16_EEv21rocsparse_index_base_T1_S2_S2_PKT2_PKS2_PS3_l16rocsparse_order_,"axG",@progbits,_ZN9rocsparseL16ell2dense_kernelILi16ELi32EiDF16_EEv21rocsparse_index_base_T1_S2_S2_PKT2_PKS2_PS3_l16rocsparse_order_,comdat
.Lfunc_end0:
	.size	_ZN9rocsparseL16ell2dense_kernelILi16ELi32EiDF16_EEv21rocsparse_index_base_T1_S2_S2_PKT2_PKS2_PS3_l16rocsparse_order_, .Lfunc_end0-_ZN9rocsparseL16ell2dense_kernelILi16ELi32EiDF16_EEv21rocsparse_index_base_T1_S2_S2_PKT2_PKS2_PS3_l16rocsparse_order_
                                        ; -- End function
	.set _ZN9rocsparseL16ell2dense_kernelILi16ELi32EiDF16_EEv21rocsparse_index_base_T1_S2_S2_PKT2_PKS2_PS3_l16rocsparse_order_.num_vgpr, 10
	.set _ZN9rocsparseL16ell2dense_kernelILi16ELi32EiDF16_EEv21rocsparse_index_base_T1_S2_S2_PKT2_PKS2_PS3_l16rocsparse_order_.num_agpr, 0
	.set _ZN9rocsparseL16ell2dense_kernelILi16ELi32EiDF16_EEv21rocsparse_index_base_T1_S2_S2_PKT2_PKS2_PS3_l16rocsparse_order_.numbered_sgpr, 20
	.set _ZN9rocsparseL16ell2dense_kernelILi16ELi32EiDF16_EEv21rocsparse_index_base_T1_S2_S2_PKT2_PKS2_PS3_l16rocsparse_order_.num_named_barrier, 0
	.set _ZN9rocsparseL16ell2dense_kernelILi16ELi32EiDF16_EEv21rocsparse_index_base_T1_S2_S2_PKT2_PKS2_PS3_l16rocsparse_order_.private_seg_size, 0
	.set _ZN9rocsparseL16ell2dense_kernelILi16ELi32EiDF16_EEv21rocsparse_index_base_T1_S2_S2_PKT2_PKS2_PS3_l16rocsparse_order_.uses_vcc, 1
	.set _ZN9rocsparseL16ell2dense_kernelILi16ELi32EiDF16_EEv21rocsparse_index_base_T1_S2_S2_PKT2_PKS2_PS3_l16rocsparse_order_.uses_flat_scratch, 0
	.set _ZN9rocsparseL16ell2dense_kernelILi16ELi32EiDF16_EEv21rocsparse_index_base_T1_S2_S2_PKT2_PKS2_PS3_l16rocsparse_order_.has_dyn_sized_stack, 0
	.set _ZN9rocsparseL16ell2dense_kernelILi16ELi32EiDF16_EEv21rocsparse_index_base_T1_S2_S2_PKT2_PKS2_PS3_l16rocsparse_order_.has_recursion, 0
	.set _ZN9rocsparseL16ell2dense_kernelILi16ELi32EiDF16_EEv21rocsparse_index_base_T1_S2_S2_PKT2_PKS2_PS3_l16rocsparse_order_.has_indirect_call, 0
	.section	.AMDGPU.csdata,"",@progbits
; Kernel info:
; codeLenInByte = 340
; TotalNumSgprs: 24
; NumVgprs: 10
; ScratchSize: 0
; MemoryBound: 0
; FloatMode: 240
; IeeeMode: 1
; LDSByteSize: 0 bytes/workgroup (compile time only)
; SGPRBlocks: 2
; VGPRBlocks: 2
; NumSGPRsForWavesPerEU: 24
; NumVGPRsForWavesPerEU: 10
; Occupancy: 10
; WaveLimiterHint : 1
; COMPUTE_PGM_RSRC2:SCRATCH_EN: 0
; COMPUTE_PGM_RSRC2:USER_SGPR: 6
; COMPUTE_PGM_RSRC2:TRAP_HANDLER: 0
; COMPUTE_PGM_RSRC2:TGID_X_EN: 1
; COMPUTE_PGM_RSRC2:TGID_Y_EN: 0
; COMPUTE_PGM_RSRC2:TGID_Z_EN: 0
; COMPUTE_PGM_RSRC2:TIDIG_COMP_CNT: 0
	.section	.text._ZN9rocsparseL16ell2dense_kernelILi16ELi64EiDF16_EEv21rocsparse_index_base_T1_S2_S2_PKT2_PKS2_PS3_l16rocsparse_order_,"axG",@progbits,_ZN9rocsparseL16ell2dense_kernelILi16ELi64EiDF16_EEv21rocsparse_index_base_T1_S2_S2_PKT2_PKS2_PS3_l16rocsparse_order_,comdat
	.globl	_ZN9rocsparseL16ell2dense_kernelILi16ELi64EiDF16_EEv21rocsparse_index_base_T1_S2_S2_PKT2_PKS2_PS3_l16rocsparse_order_ ; -- Begin function _ZN9rocsparseL16ell2dense_kernelILi16ELi64EiDF16_EEv21rocsparse_index_base_T1_S2_S2_PKT2_PKS2_PS3_l16rocsparse_order_
	.p2align	8
	.type	_ZN9rocsparseL16ell2dense_kernelILi16ELi64EiDF16_EEv21rocsparse_index_base_T1_S2_S2_PKT2_PKS2_PS3_l16rocsparse_order_,@function
_ZN9rocsparseL16ell2dense_kernelILi16ELi64EiDF16_EEv21rocsparse_index_base_T1_S2_S2_PKT2_PKS2_PS3_l16rocsparse_order_: ; @_ZN9rocsparseL16ell2dense_kernelILi16ELi64EiDF16_EEv21rocsparse_index_base_T1_S2_S2_PKT2_PKS2_PS3_l16rocsparse_order_
; %bb.0:
	s_load_dwordx4 s[16:19], s[4:5], 0x0
	v_lshrrev_b32_e32 v1, 6, v0
	v_lshl_or_b32 v1, s6, 4, v1
	s_waitcnt lgkmcnt(0)
	v_cmp_gt_u32_e32 vcc, s19, v1
	s_and_saveexec_b64 s[0:1], vcc
	s_cbranch_execz .LBB1_6
; %bb.1:
	v_and_b32_e32 v2, 63, v0
	v_cmp_gt_i32_e32 vcc, s17, v2
	s_and_b64 exec, exec, vcc
	s_cbranch_execz .LBB1_6
; %bb.2:
	s_load_dword s0, s[4:5], 0x30
	s_load_dwordx8 s[8:15], s[4:5], 0x10
	v_mul_lo_u32 v3, s17, v1
	s_mov_b64 s[4:5], 0
	v_mov_b32_e32 v1, 0
	s_waitcnt lgkmcnt(0)
	s_cmp_eq_u32 s0, 1
	s_cselect_b64 vcc, -1, 0
	v_mov_b32_e32 v4, s11
	s_branch .LBB1_4
.LBB1_3:                                ;   in Loop: Header=BB1_4 Depth=1
	s_or_b64 exec, exec, s[2:3]
	v_add_u32_e32 v2, 64, v2
	v_cmp_le_i32_e64 s[0:1], s17, v2
	s_or_b64 s[4:5], s[0:1], s[4:5]
	s_andn2_b64 exec, exec, s[4:5]
	s_cbranch_execz .LBB1_6
.LBB1_4:                                ; =>This Inner Loop Header: Depth=1
	v_add_u32_e32 v0, v3, v2
	v_lshlrev_b64 v[5:6], 2, v[0:1]
	v_add_co_u32_e64 v5, s[0:1], s10, v5
	v_addc_co_u32_e64 v6, s[0:1], v4, v6, s[0:1]
	global_load_dword v5, v[5:6], off
	s_waitcnt vmcnt(0)
	v_subrev_u32_e32 v5, s16, v5
	v_cmp_lt_i32_e64 s[0:1], -1, v5
	v_cmp_gt_i32_e64 s[2:3], s18, v5
	s_and_b64 s[0:1], s[0:1], s[2:3]
	s_and_saveexec_b64 s[2:3], s[0:1]
	s_cbranch_execz .LBB1_3
; %bb.5:                                ;   in Loop: Header=BB1_4 Depth=1
	v_lshlrev_b64 v[6:7], 1, v[0:1]
	v_mov_b32_e32 v0, s9
	v_add_co_u32_e64 v6, s[0:1], s8, v6
	v_addc_co_u32_e64 v7, s[0:1], v0, v7, s[0:1]
	global_load_ushort v9, v[6:7], off
	v_cndmask_b32_e32 v8, v2, v5, vcc
	v_mad_u64_u32 v[6:7], s[0:1], s14, v8, 0
	v_mov_b32_e32 v0, v7
	v_mad_u64_u32 v[7:8], s[0:1], s15, v8, v[0:1]
	v_cndmask_b32_e32 v0, v5, v2, vcc
	v_lshlrev_b64 v[5:6], 1, v[6:7]
	v_mov_b32_e32 v7, s13
	v_add_co_u32_e64 v8, s[0:1], s12, v5
	v_addc_co_u32_e64 v7, s[0:1], v7, v6, s[0:1]
	v_lshlrev_b64 v[5:6], 1, v[0:1]
	v_add_co_u32_e64 v5, s[0:1], v8, v5
	v_addc_co_u32_e64 v6, s[0:1], v7, v6, s[0:1]
	s_waitcnt vmcnt(0)
	global_store_short v[5:6], v9, off
	s_branch .LBB1_3
.LBB1_6:
	s_endpgm
	.section	.rodata,"a",@progbits
	.p2align	6, 0x0
	.amdhsa_kernel _ZN9rocsparseL16ell2dense_kernelILi16ELi64EiDF16_EEv21rocsparse_index_base_T1_S2_S2_PKT2_PKS2_PS3_l16rocsparse_order_
		.amdhsa_group_segment_fixed_size 0
		.amdhsa_private_segment_fixed_size 0
		.amdhsa_kernarg_size 52
		.amdhsa_user_sgpr_count 6
		.amdhsa_user_sgpr_private_segment_buffer 1
		.amdhsa_user_sgpr_dispatch_ptr 0
		.amdhsa_user_sgpr_queue_ptr 0
		.amdhsa_user_sgpr_kernarg_segment_ptr 1
		.amdhsa_user_sgpr_dispatch_id 0
		.amdhsa_user_sgpr_flat_scratch_init 0
		.amdhsa_user_sgpr_private_segment_size 0
		.amdhsa_uses_dynamic_stack 0
		.amdhsa_system_sgpr_private_segment_wavefront_offset 0
		.amdhsa_system_sgpr_workgroup_id_x 1
		.amdhsa_system_sgpr_workgroup_id_y 0
		.amdhsa_system_sgpr_workgroup_id_z 0
		.amdhsa_system_sgpr_workgroup_info 0
		.amdhsa_system_vgpr_workitem_id 0
		.amdhsa_next_free_vgpr 10
		.amdhsa_next_free_sgpr 20
		.amdhsa_reserve_vcc 1
		.amdhsa_reserve_flat_scratch 0
		.amdhsa_float_round_mode_32 0
		.amdhsa_float_round_mode_16_64 0
		.amdhsa_float_denorm_mode_32 3
		.amdhsa_float_denorm_mode_16_64 3
		.amdhsa_dx10_clamp 1
		.amdhsa_ieee_mode 1
		.amdhsa_fp16_overflow 0
		.amdhsa_exception_fp_ieee_invalid_op 0
		.amdhsa_exception_fp_denorm_src 0
		.amdhsa_exception_fp_ieee_div_zero 0
		.amdhsa_exception_fp_ieee_overflow 0
		.amdhsa_exception_fp_ieee_underflow 0
		.amdhsa_exception_fp_ieee_inexact 0
		.amdhsa_exception_int_div_zero 0
	.end_amdhsa_kernel
	.section	.text._ZN9rocsparseL16ell2dense_kernelILi16ELi64EiDF16_EEv21rocsparse_index_base_T1_S2_S2_PKT2_PKS2_PS3_l16rocsparse_order_,"axG",@progbits,_ZN9rocsparseL16ell2dense_kernelILi16ELi64EiDF16_EEv21rocsparse_index_base_T1_S2_S2_PKT2_PKS2_PS3_l16rocsparse_order_,comdat
.Lfunc_end1:
	.size	_ZN9rocsparseL16ell2dense_kernelILi16ELi64EiDF16_EEv21rocsparse_index_base_T1_S2_S2_PKT2_PKS2_PS3_l16rocsparse_order_, .Lfunc_end1-_ZN9rocsparseL16ell2dense_kernelILi16ELi64EiDF16_EEv21rocsparse_index_base_T1_S2_S2_PKT2_PKS2_PS3_l16rocsparse_order_
                                        ; -- End function
	.set _ZN9rocsparseL16ell2dense_kernelILi16ELi64EiDF16_EEv21rocsparse_index_base_T1_S2_S2_PKT2_PKS2_PS3_l16rocsparse_order_.num_vgpr, 10
	.set _ZN9rocsparseL16ell2dense_kernelILi16ELi64EiDF16_EEv21rocsparse_index_base_T1_S2_S2_PKT2_PKS2_PS3_l16rocsparse_order_.num_agpr, 0
	.set _ZN9rocsparseL16ell2dense_kernelILi16ELi64EiDF16_EEv21rocsparse_index_base_T1_S2_S2_PKT2_PKS2_PS3_l16rocsparse_order_.numbered_sgpr, 20
	.set _ZN9rocsparseL16ell2dense_kernelILi16ELi64EiDF16_EEv21rocsparse_index_base_T1_S2_S2_PKT2_PKS2_PS3_l16rocsparse_order_.num_named_barrier, 0
	.set _ZN9rocsparseL16ell2dense_kernelILi16ELi64EiDF16_EEv21rocsparse_index_base_T1_S2_S2_PKT2_PKS2_PS3_l16rocsparse_order_.private_seg_size, 0
	.set _ZN9rocsparseL16ell2dense_kernelILi16ELi64EiDF16_EEv21rocsparse_index_base_T1_S2_S2_PKT2_PKS2_PS3_l16rocsparse_order_.uses_vcc, 1
	.set _ZN9rocsparseL16ell2dense_kernelILi16ELi64EiDF16_EEv21rocsparse_index_base_T1_S2_S2_PKT2_PKS2_PS3_l16rocsparse_order_.uses_flat_scratch, 0
	.set _ZN9rocsparseL16ell2dense_kernelILi16ELi64EiDF16_EEv21rocsparse_index_base_T1_S2_S2_PKT2_PKS2_PS3_l16rocsparse_order_.has_dyn_sized_stack, 0
	.set _ZN9rocsparseL16ell2dense_kernelILi16ELi64EiDF16_EEv21rocsparse_index_base_T1_S2_S2_PKT2_PKS2_PS3_l16rocsparse_order_.has_recursion, 0
	.set _ZN9rocsparseL16ell2dense_kernelILi16ELi64EiDF16_EEv21rocsparse_index_base_T1_S2_S2_PKT2_PKS2_PS3_l16rocsparse_order_.has_indirect_call, 0
	.section	.AMDGPU.csdata,"",@progbits
; Kernel info:
; codeLenInByte = 340
; TotalNumSgprs: 24
; NumVgprs: 10
; ScratchSize: 0
; MemoryBound: 0
; FloatMode: 240
; IeeeMode: 1
; LDSByteSize: 0 bytes/workgroup (compile time only)
; SGPRBlocks: 2
; VGPRBlocks: 2
; NumSGPRsForWavesPerEU: 24
; NumVGPRsForWavesPerEU: 10
; Occupancy: 10
; WaveLimiterHint : 1
; COMPUTE_PGM_RSRC2:SCRATCH_EN: 0
; COMPUTE_PGM_RSRC2:USER_SGPR: 6
; COMPUTE_PGM_RSRC2:TRAP_HANDLER: 0
; COMPUTE_PGM_RSRC2:TGID_X_EN: 1
; COMPUTE_PGM_RSRC2:TGID_Y_EN: 0
; COMPUTE_PGM_RSRC2:TGID_Z_EN: 0
; COMPUTE_PGM_RSRC2:TIDIG_COMP_CNT: 0
	.section	.text._ZN9rocsparseL16ell2dense_kernelILi16ELi32EifEEv21rocsparse_index_base_T1_S2_S2_PKT2_PKS2_PS3_l16rocsparse_order_,"axG",@progbits,_ZN9rocsparseL16ell2dense_kernelILi16ELi32EifEEv21rocsparse_index_base_T1_S2_S2_PKT2_PKS2_PS3_l16rocsparse_order_,comdat
	.globl	_ZN9rocsparseL16ell2dense_kernelILi16ELi32EifEEv21rocsparse_index_base_T1_S2_S2_PKT2_PKS2_PS3_l16rocsparse_order_ ; -- Begin function _ZN9rocsparseL16ell2dense_kernelILi16ELi32EifEEv21rocsparse_index_base_T1_S2_S2_PKT2_PKS2_PS3_l16rocsparse_order_
	.p2align	8
	.type	_ZN9rocsparseL16ell2dense_kernelILi16ELi32EifEEv21rocsparse_index_base_T1_S2_S2_PKT2_PKS2_PS3_l16rocsparse_order_,@function
_ZN9rocsparseL16ell2dense_kernelILi16ELi32EifEEv21rocsparse_index_base_T1_S2_S2_PKT2_PKS2_PS3_l16rocsparse_order_: ; @_ZN9rocsparseL16ell2dense_kernelILi16ELi32EifEEv21rocsparse_index_base_T1_S2_S2_PKT2_PKS2_PS3_l16rocsparse_order_
; %bb.0:
	s_load_dwordx4 s[16:19], s[4:5], 0x0
	v_lshrrev_b32_e32 v1, 5, v0
	v_lshl_or_b32 v1, s6, 4, v1
	s_waitcnt lgkmcnt(0)
	v_cmp_gt_u32_e32 vcc, s19, v1
	s_and_saveexec_b64 s[0:1], vcc
	s_cbranch_execz .LBB2_6
; %bb.1:
	v_and_b32_e32 v4, 31, v0
	v_cmp_gt_i32_e32 vcc, s17, v4
	s_and_b64 exec, exec, vcc
	s_cbranch_execz .LBB2_6
; %bb.2:
	s_load_dword s0, s[4:5], 0x30
	s_load_dwordx8 s[8:15], s[4:5], 0x10
	v_mul_lo_u32 v5, s17, v1
	s_mov_b64 s[4:5], 0
	v_mov_b32_e32 v1, 0
	s_waitcnt lgkmcnt(0)
	s_cmp_eq_u32 s0, 1
	s_cselect_b64 vcc, -1, 0
	v_mov_b32_e32 v6, s11
	s_branch .LBB2_4
.LBB2_3:                                ;   in Loop: Header=BB2_4 Depth=1
	s_or_b64 exec, exec, s[2:3]
	v_add_u32_e32 v4, 32, v4
	v_cmp_le_i32_e64 s[0:1], s17, v4
	s_or_b64 s[4:5], s[0:1], s[4:5]
	s_andn2_b64 exec, exec, s[4:5]
	s_cbranch_execz .LBB2_6
.LBB2_4:                                ; =>This Inner Loop Header: Depth=1
	v_add_u32_e32 v0, v5, v4
	v_lshlrev_b64 v[2:3], 2, v[0:1]
	v_add_co_u32_e64 v7, s[0:1], s10, v2
	v_addc_co_u32_e64 v8, s[0:1], v6, v3, s[0:1]
	global_load_dword v0, v[7:8], off
	s_waitcnt vmcnt(0)
	v_subrev_u32_e32 v0, s16, v0
	v_cmp_lt_i32_e64 s[0:1], -1, v0
	v_cmp_gt_i32_e64 s[2:3], s18, v0
	s_and_b64 s[0:1], s[0:1], s[2:3]
	s_and_saveexec_b64 s[2:3], s[0:1]
	s_cbranch_execz .LBB2_3
; %bb.5:                                ;   in Loop: Header=BB2_4 Depth=1
	v_mov_b32_e32 v7, s9
	v_add_co_u32_e64 v2, s[0:1], s8, v2
	v_addc_co_u32_e64 v3, s[0:1], v7, v3, s[0:1]
	global_load_dword v9, v[2:3], off
	v_cndmask_b32_e32 v7, v4, v0, vcc
	v_mad_u64_u32 v[2:3], s[0:1], s14, v7, 0
	v_cndmask_b32_e32 v0, v0, v4, vcc
	v_mad_u64_u32 v[7:8], s[0:1], s15, v7, v[3:4]
	v_mov_b32_e32 v3, v7
	v_lshlrev_b64 v[2:3], 2, v[2:3]
	v_mov_b32_e32 v7, s13
	v_add_co_u32_e64 v8, s[0:1], s12, v2
	v_addc_co_u32_e64 v7, s[0:1], v7, v3, s[0:1]
	v_lshlrev_b64 v[2:3], 2, v[0:1]
	v_add_co_u32_e64 v2, s[0:1], v8, v2
	v_addc_co_u32_e64 v3, s[0:1], v7, v3, s[0:1]
	s_waitcnt vmcnt(0)
	global_store_dword v[2:3], v9, off
	s_branch .LBB2_3
.LBB2_6:
	s_endpgm
	.section	.rodata,"a",@progbits
	.p2align	6, 0x0
	.amdhsa_kernel _ZN9rocsparseL16ell2dense_kernelILi16ELi32EifEEv21rocsparse_index_base_T1_S2_S2_PKT2_PKS2_PS3_l16rocsparse_order_
		.amdhsa_group_segment_fixed_size 0
		.amdhsa_private_segment_fixed_size 0
		.amdhsa_kernarg_size 52
		.amdhsa_user_sgpr_count 6
		.amdhsa_user_sgpr_private_segment_buffer 1
		.amdhsa_user_sgpr_dispatch_ptr 0
		.amdhsa_user_sgpr_queue_ptr 0
		.amdhsa_user_sgpr_kernarg_segment_ptr 1
		.amdhsa_user_sgpr_dispatch_id 0
		.amdhsa_user_sgpr_flat_scratch_init 0
		.amdhsa_user_sgpr_private_segment_size 0
		.amdhsa_uses_dynamic_stack 0
		.amdhsa_system_sgpr_private_segment_wavefront_offset 0
		.amdhsa_system_sgpr_workgroup_id_x 1
		.amdhsa_system_sgpr_workgroup_id_y 0
		.amdhsa_system_sgpr_workgroup_id_z 0
		.amdhsa_system_sgpr_workgroup_info 0
		.amdhsa_system_vgpr_workitem_id 0
		.amdhsa_next_free_vgpr 10
		.amdhsa_next_free_sgpr 20
		.amdhsa_reserve_vcc 1
		.amdhsa_reserve_flat_scratch 0
		.amdhsa_float_round_mode_32 0
		.amdhsa_float_round_mode_16_64 0
		.amdhsa_float_denorm_mode_32 3
		.amdhsa_float_denorm_mode_16_64 3
		.amdhsa_dx10_clamp 1
		.amdhsa_ieee_mode 1
		.amdhsa_fp16_overflow 0
		.amdhsa_exception_fp_ieee_invalid_op 0
		.amdhsa_exception_fp_denorm_src 0
		.amdhsa_exception_fp_ieee_div_zero 0
		.amdhsa_exception_fp_ieee_overflow 0
		.amdhsa_exception_fp_ieee_underflow 0
		.amdhsa_exception_fp_ieee_inexact 0
		.amdhsa_exception_int_div_zero 0
	.end_amdhsa_kernel
	.section	.text._ZN9rocsparseL16ell2dense_kernelILi16ELi32EifEEv21rocsparse_index_base_T1_S2_S2_PKT2_PKS2_PS3_l16rocsparse_order_,"axG",@progbits,_ZN9rocsparseL16ell2dense_kernelILi16ELi32EifEEv21rocsparse_index_base_T1_S2_S2_PKT2_PKS2_PS3_l16rocsparse_order_,comdat
.Lfunc_end2:
	.size	_ZN9rocsparseL16ell2dense_kernelILi16ELi32EifEEv21rocsparse_index_base_T1_S2_S2_PKT2_PKS2_PS3_l16rocsparse_order_, .Lfunc_end2-_ZN9rocsparseL16ell2dense_kernelILi16ELi32EifEEv21rocsparse_index_base_T1_S2_S2_PKT2_PKS2_PS3_l16rocsparse_order_
                                        ; -- End function
	.set _ZN9rocsparseL16ell2dense_kernelILi16ELi32EifEEv21rocsparse_index_base_T1_S2_S2_PKT2_PKS2_PS3_l16rocsparse_order_.num_vgpr, 10
	.set _ZN9rocsparseL16ell2dense_kernelILi16ELi32EifEEv21rocsparse_index_base_T1_S2_S2_PKT2_PKS2_PS3_l16rocsparse_order_.num_agpr, 0
	.set _ZN9rocsparseL16ell2dense_kernelILi16ELi32EifEEv21rocsparse_index_base_T1_S2_S2_PKT2_PKS2_PS3_l16rocsparse_order_.numbered_sgpr, 20
	.set _ZN9rocsparseL16ell2dense_kernelILi16ELi32EifEEv21rocsparse_index_base_T1_S2_S2_PKT2_PKS2_PS3_l16rocsparse_order_.num_named_barrier, 0
	.set _ZN9rocsparseL16ell2dense_kernelILi16ELi32EifEEv21rocsparse_index_base_T1_S2_S2_PKT2_PKS2_PS3_l16rocsparse_order_.private_seg_size, 0
	.set _ZN9rocsparseL16ell2dense_kernelILi16ELi32EifEEv21rocsparse_index_base_T1_S2_S2_PKT2_PKS2_PS3_l16rocsparse_order_.uses_vcc, 1
	.set _ZN9rocsparseL16ell2dense_kernelILi16ELi32EifEEv21rocsparse_index_base_T1_S2_S2_PKT2_PKS2_PS3_l16rocsparse_order_.uses_flat_scratch, 0
	.set _ZN9rocsparseL16ell2dense_kernelILi16ELi32EifEEv21rocsparse_index_base_T1_S2_S2_PKT2_PKS2_PS3_l16rocsparse_order_.has_dyn_sized_stack, 0
	.set _ZN9rocsparseL16ell2dense_kernelILi16ELi32EifEEv21rocsparse_index_base_T1_S2_S2_PKT2_PKS2_PS3_l16rocsparse_order_.has_recursion, 0
	.set _ZN9rocsparseL16ell2dense_kernelILi16ELi32EifEEv21rocsparse_index_base_T1_S2_S2_PKT2_PKS2_PS3_l16rocsparse_order_.has_indirect_call, 0
	.section	.AMDGPU.csdata,"",@progbits
; Kernel info:
; codeLenInByte = 332
; TotalNumSgprs: 24
; NumVgprs: 10
; ScratchSize: 0
; MemoryBound: 0
; FloatMode: 240
; IeeeMode: 1
; LDSByteSize: 0 bytes/workgroup (compile time only)
; SGPRBlocks: 2
; VGPRBlocks: 2
; NumSGPRsForWavesPerEU: 24
; NumVGPRsForWavesPerEU: 10
; Occupancy: 10
; WaveLimiterHint : 1
; COMPUTE_PGM_RSRC2:SCRATCH_EN: 0
; COMPUTE_PGM_RSRC2:USER_SGPR: 6
; COMPUTE_PGM_RSRC2:TRAP_HANDLER: 0
; COMPUTE_PGM_RSRC2:TGID_X_EN: 1
; COMPUTE_PGM_RSRC2:TGID_Y_EN: 0
; COMPUTE_PGM_RSRC2:TGID_Z_EN: 0
; COMPUTE_PGM_RSRC2:TIDIG_COMP_CNT: 0
	.section	.text._ZN9rocsparseL16ell2dense_kernelILi16ELi64EifEEv21rocsparse_index_base_T1_S2_S2_PKT2_PKS2_PS3_l16rocsparse_order_,"axG",@progbits,_ZN9rocsparseL16ell2dense_kernelILi16ELi64EifEEv21rocsparse_index_base_T1_S2_S2_PKT2_PKS2_PS3_l16rocsparse_order_,comdat
	.globl	_ZN9rocsparseL16ell2dense_kernelILi16ELi64EifEEv21rocsparse_index_base_T1_S2_S2_PKT2_PKS2_PS3_l16rocsparse_order_ ; -- Begin function _ZN9rocsparseL16ell2dense_kernelILi16ELi64EifEEv21rocsparse_index_base_T1_S2_S2_PKT2_PKS2_PS3_l16rocsparse_order_
	.p2align	8
	.type	_ZN9rocsparseL16ell2dense_kernelILi16ELi64EifEEv21rocsparse_index_base_T1_S2_S2_PKT2_PKS2_PS3_l16rocsparse_order_,@function
_ZN9rocsparseL16ell2dense_kernelILi16ELi64EifEEv21rocsparse_index_base_T1_S2_S2_PKT2_PKS2_PS3_l16rocsparse_order_: ; @_ZN9rocsparseL16ell2dense_kernelILi16ELi64EifEEv21rocsparse_index_base_T1_S2_S2_PKT2_PKS2_PS3_l16rocsparse_order_
; %bb.0:
	s_load_dwordx4 s[16:19], s[4:5], 0x0
	v_lshrrev_b32_e32 v1, 6, v0
	v_lshl_or_b32 v1, s6, 4, v1
	s_waitcnt lgkmcnt(0)
	v_cmp_gt_u32_e32 vcc, s19, v1
	s_and_saveexec_b64 s[0:1], vcc
	s_cbranch_execz .LBB3_6
; %bb.1:
	v_and_b32_e32 v4, 63, v0
	v_cmp_gt_i32_e32 vcc, s17, v4
	s_and_b64 exec, exec, vcc
	s_cbranch_execz .LBB3_6
; %bb.2:
	s_load_dword s0, s[4:5], 0x30
	s_load_dwordx8 s[8:15], s[4:5], 0x10
	v_mul_lo_u32 v5, s17, v1
	s_mov_b64 s[4:5], 0
	v_mov_b32_e32 v1, 0
	s_waitcnt lgkmcnt(0)
	s_cmp_eq_u32 s0, 1
	s_cselect_b64 vcc, -1, 0
	v_mov_b32_e32 v6, s11
	s_branch .LBB3_4
.LBB3_3:                                ;   in Loop: Header=BB3_4 Depth=1
	s_or_b64 exec, exec, s[2:3]
	v_add_u32_e32 v4, 64, v4
	v_cmp_le_i32_e64 s[0:1], s17, v4
	s_or_b64 s[4:5], s[0:1], s[4:5]
	s_andn2_b64 exec, exec, s[4:5]
	s_cbranch_execz .LBB3_6
.LBB3_4:                                ; =>This Inner Loop Header: Depth=1
	v_add_u32_e32 v0, v5, v4
	v_lshlrev_b64 v[2:3], 2, v[0:1]
	v_add_co_u32_e64 v7, s[0:1], s10, v2
	v_addc_co_u32_e64 v8, s[0:1], v6, v3, s[0:1]
	global_load_dword v0, v[7:8], off
	s_waitcnt vmcnt(0)
	v_subrev_u32_e32 v0, s16, v0
	v_cmp_lt_i32_e64 s[0:1], -1, v0
	v_cmp_gt_i32_e64 s[2:3], s18, v0
	s_and_b64 s[0:1], s[0:1], s[2:3]
	s_and_saveexec_b64 s[2:3], s[0:1]
	s_cbranch_execz .LBB3_3
; %bb.5:                                ;   in Loop: Header=BB3_4 Depth=1
	v_mov_b32_e32 v7, s9
	v_add_co_u32_e64 v2, s[0:1], s8, v2
	v_addc_co_u32_e64 v3, s[0:1], v7, v3, s[0:1]
	global_load_dword v9, v[2:3], off
	v_cndmask_b32_e32 v7, v4, v0, vcc
	v_mad_u64_u32 v[2:3], s[0:1], s14, v7, 0
	v_cndmask_b32_e32 v0, v0, v4, vcc
	v_mad_u64_u32 v[7:8], s[0:1], s15, v7, v[3:4]
	v_mov_b32_e32 v3, v7
	v_lshlrev_b64 v[2:3], 2, v[2:3]
	v_mov_b32_e32 v7, s13
	v_add_co_u32_e64 v8, s[0:1], s12, v2
	v_addc_co_u32_e64 v7, s[0:1], v7, v3, s[0:1]
	v_lshlrev_b64 v[2:3], 2, v[0:1]
	v_add_co_u32_e64 v2, s[0:1], v8, v2
	v_addc_co_u32_e64 v3, s[0:1], v7, v3, s[0:1]
	s_waitcnt vmcnt(0)
	global_store_dword v[2:3], v9, off
	s_branch .LBB3_3
.LBB3_6:
	s_endpgm
	.section	.rodata,"a",@progbits
	.p2align	6, 0x0
	.amdhsa_kernel _ZN9rocsparseL16ell2dense_kernelILi16ELi64EifEEv21rocsparse_index_base_T1_S2_S2_PKT2_PKS2_PS3_l16rocsparse_order_
		.amdhsa_group_segment_fixed_size 0
		.amdhsa_private_segment_fixed_size 0
		.amdhsa_kernarg_size 52
		.amdhsa_user_sgpr_count 6
		.amdhsa_user_sgpr_private_segment_buffer 1
		.amdhsa_user_sgpr_dispatch_ptr 0
		.amdhsa_user_sgpr_queue_ptr 0
		.amdhsa_user_sgpr_kernarg_segment_ptr 1
		.amdhsa_user_sgpr_dispatch_id 0
		.amdhsa_user_sgpr_flat_scratch_init 0
		.amdhsa_user_sgpr_private_segment_size 0
		.amdhsa_uses_dynamic_stack 0
		.amdhsa_system_sgpr_private_segment_wavefront_offset 0
		.amdhsa_system_sgpr_workgroup_id_x 1
		.amdhsa_system_sgpr_workgroup_id_y 0
		.amdhsa_system_sgpr_workgroup_id_z 0
		.amdhsa_system_sgpr_workgroup_info 0
		.amdhsa_system_vgpr_workitem_id 0
		.amdhsa_next_free_vgpr 10
		.amdhsa_next_free_sgpr 20
		.amdhsa_reserve_vcc 1
		.amdhsa_reserve_flat_scratch 0
		.amdhsa_float_round_mode_32 0
		.amdhsa_float_round_mode_16_64 0
		.amdhsa_float_denorm_mode_32 3
		.amdhsa_float_denorm_mode_16_64 3
		.amdhsa_dx10_clamp 1
		.amdhsa_ieee_mode 1
		.amdhsa_fp16_overflow 0
		.amdhsa_exception_fp_ieee_invalid_op 0
		.amdhsa_exception_fp_denorm_src 0
		.amdhsa_exception_fp_ieee_div_zero 0
		.amdhsa_exception_fp_ieee_overflow 0
		.amdhsa_exception_fp_ieee_underflow 0
		.amdhsa_exception_fp_ieee_inexact 0
		.amdhsa_exception_int_div_zero 0
	.end_amdhsa_kernel
	.section	.text._ZN9rocsparseL16ell2dense_kernelILi16ELi64EifEEv21rocsparse_index_base_T1_S2_S2_PKT2_PKS2_PS3_l16rocsparse_order_,"axG",@progbits,_ZN9rocsparseL16ell2dense_kernelILi16ELi64EifEEv21rocsparse_index_base_T1_S2_S2_PKT2_PKS2_PS3_l16rocsparse_order_,comdat
.Lfunc_end3:
	.size	_ZN9rocsparseL16ell2dense_kernelILi16ELi64EifEEv21rocsparse_index_base_T1_S2_S2_PKT2_PKS2_PS3_l16rocsparse_order_, .Lfunc_end3-_ZN9rocsparseL16ell2dense_kernelILi16ELi64EifEEv21rocsparse_index_base_T1_S2_S2_PKT2_PKS2_PS3_l16rocsparse_order_
                                        ; -- End function
	.set _ZN9rocsparseL16ell2dense_kernelILi16ELi64EifEEv21rocsparse_index_base_T1_S2_S2_PKT2_PKS2_PS3_l16rocsparse_order_.num_vgpr, 10
	.set _ZN9rocsparseL16ell2dense_kernelILi16ELi64EifEEv21rocsparse_index_base_T1_S2_S2_PKT2_PKS2_PS3_l16rocsparse_order_.num_agpr, 0
	.set _ZN9rocsparseL16ell2dense_kernelILi16ELi64EifEEv21rocsparse_index_base_T1_S2_S2_PKT2_PKS2_PS3_l16rocsparse_order_.numbered_sgpr, 20
	.set _ZN9rocsparseL16ell2dense_kernelILi16ELi64EifEEv21rocsparse_index_base_T1_S2_S2_PKT2_PKS2_PS3_l16rocsparse_order_.num_named_barrier, 0
	.set _ZN9rocsparseL16ell2dense_kernelILi16ELi64EifEEv21rocsparse_index_base_T1_S2_S2_PKT2_PKS2_PS3_l16rocsparse_order_.private_seg_size, 0
	.set _ZN9rocsparseL16ell2dense_kernelILi16ELi64EifEEv21rocsparse_index_base_T1_S2_S2_PKT2_PKS2_PS3_l16rocsparse_order_.uses_vcc, 1
	.set _ZN9rocsparseL16ell2dense_kernelILi16ELi64EifEEv21rocsparse_index_base_T1_S2_S2_PKT2_PKS2_PS3_l16rocsparse_order_.uses_flat_scratch, 0
	.set _ZN9rocsparseL16ell2dense_kernelILi16ELi64EifEEv21rocsparse_index_base_T1_S2_S2_PKT2_PKS2_PS3_l16rocsparse_order_.has_dyn_sized_stack, 0
	.set _ZN9rocsparseL16ell2dense_kernelILi16ELi64EifEEv21rocsparse_index_base_T1_S2_S2_PKT2_PKS2_PS3_l16rocsparse_order_.has_recursion, 0
	.set _ZN9rocsparseL16ell2dense_kernelILi16ELi64EifEEv21rocsparse_index_base_T1_S2_S2_PKT2_PKS2_PS3_l16rocsparse_order_.has_indirect_call, 0
	.section	.AMDGPU.csdata,"",@progbits
; Kernel info:
; codeLenInByte = 332
; TotalNumSgprs: 24
; NumVgprs: 10
; ScratchSize: 0
; MemoryBound: 0
; FloatMode: 240
; IeeeMode: 1
; LDSByteSize: 0 bytes/workgroup (compile time only)
; SGPRBlocks: 2
; VGPRBlocks: 2
; NumSGPRsForWavesPerEU: 24
; NumVGPRsForWavesPerEU: 10
; Occupancy: 10
; WaveLimiterHint : 1
; COMPUTE_PGM_RSRC2:SCRATCH_EN: 0
; COMPUTE_PGM_RSRC2:USER_SGPR: 6
; COMPUTE_PGM_RSRC2:TRAP_HANDLER: 0
; COMPUTE_PGM_RSRC2:TGID_X_EN: 1
; COMPUTE_PGM_RSRC2:TGID_Y_EN: 0
; COMPUTE_PGM_RSRC2:TGID_Z_EN: 0
; COMPUTE_PGM_RSRC2:TIDIG_COMP_CNT: 0
	.section	.text._ZN9rocsparseL16ell2dense_kernelILi16ELi32EidEEv21rocsparse_index_base_T1_S2_S2_PKT2_PKS2_PS3_l16rocsparse_order_,"axG",@progbits,_ZN9rocsparseL16ell2dense_kernelILi16ELi32EidEEv21rocsparse_index_base_T1_S2_S2_PKT2_PKS2_PS3_l16rocsparse_order_,comdat
	.globl	_ZN9rocsparseL16ell2dense_kernelILi16ELi32EidEEv21rocsparse_index_base_T1_S2_S2_PKT2_PKS2_PS3_l16rocsparse_order_ ; -- Begin function _ZN9rocsparseL16ell2dense_kernelILi16ELi32EidEEv21rocsparse_index_base_T1_S2_S2_PKT2_PKS2_PS3_l16rocsparse_order_
	.p2align	8
	.type	_ZN9rocsparseL16ell2dense_kernelILi16ELi32EidEEv21rocsparse_index_base_T1_S2_S2_PKT2_PKS2_PS3_l16rocsparse_order_,@function
_ZN9rocsparseL16ell2dense_kernelILi16ELi32EidEEv21rocsparse_index_base_T1_S2_S2_PKT2_PKS2_PS3_l16rocsparse_order_: ; @_ZN9rocsparseL16ell2dense_kernelILi16ELi32EidEEv21rocsparse_index_base_T1_S2_S2_PKT2_PKS2_PS3_l16rocsparse_order_
; %bb.0:
	s_load_dwordx4 s[16:19], s[4:5], 0x0
	v_lshrrev_b32_e32 v1, 5, v0
	v_lshl_or_b32 v1, s6, 4, v1
	s_waitcnt lgkmcnt(0)
	v_cmp_gt_u32_e32 vcc, s19, v1
	s_and_saveexec_b64 s[0:1], vcc
	s_cbranch_execz .LBB4_6
; %bb.1:
	v_and_b32_e32 v2, 31, v0
	v_cmp_gt_i32_e32 vcc, s17, v2
	s_and_b64 exec, exec, vcc
	s_cbranch_execz .LBB4_6
; %bb.2:
	s_load_dword s0, s[4:5], 0x30
	s_load_dwordx8 s[8:15], s[4:5], 0x10
	v_mul_lo_u32 v3, s17, v1
	s_mov_b64 s[4:5], 0
	v_mov_b32_e32 v1, 0
	s_waitcnt lgkmcnt(0)
	s_cmp_eq_u32 s0, 1
	s_cselect_b64 vcc, -1, 0
	v_mov_b32_e32 v4, s11
	s_branch .LBB4_4
.LBB4_3:                                ;   in Loop: Header=BB4_4 Depth=1
	s_or_b64 exec, exec, s[2:3]
	v_add_u32_e32 v2, 32, v2
	v_cmp_le_i32_e64 s[0:1], s17, v2
	s_or_b64 s[4:5], s[0:1], s[4:5]
	s_andn2_b64 exec, exec, s[4:5]
	s_cbranch_execz .LBB4_6
.LBB4_4:                                ; =>This Inner Loop Header: Depth=1
	v_add_u32_e32 v0, v3, v2
	v_lshlrev_b64 v[5:6], 2, v[0:1]
	v_add_co_u32_e64 v5, s[0:1], s10, v5
	v_addc_co_u32_e64 v6, s[0:1], v4, v6, s[0:1]
	global_load_dword v5, v[5:6], off
	s_waitcnt vmcnt(0)
	v_subrev_u32_e32 v5, s16, v5
	v_cmp_lt_i32_e64 s[0:1], -1, v5
	v_cmp_gt_i32_e64 s[2:3], s18, v5
	s_and_b64 s[0:1], s[0:1], s[2:3]
	s_and_saveexec_b64 s[2:3], s[0:1]
	s_cbranch_execz .LBB4_3
; %bb.5:                                ;   in Loop: Header=BB4_4 Depth=1
	v_lshlrev_b64 v[6:7], 3, v[0:1]
	v_mov_b32_e32 v0, s9
	v_add_co_u32_e64 v6, s[0:1], s8, v6
	v_addc_co_u32_e64 v7, s[0:1], v0, v7, s[0:1]
	global_load_dwordx2 v[6:7], v[6:7], off
	v_cndmask_b32_e32 v10, v2, v5, vcc
	v_mad_u64_u32 v[8:9], s[0:1], s14, v10, 0
	v_mov_b32_e32 v0, v9
	v_mad_u64_u32 v[9:10], s[0:1], s15, v10, v[0:1]
	v_cndmask_b32_e32 v0, v5, v2, vcc
	v_mov_b32_e32 v5, s13
	v_lshlrev_b64 v[8:9], 3, v[8:9]
	v_add_co_u32_e64 v10, s[0:1], s12, v8
	v_addc_co_u32_e64 v5, s[0:1], v5, v9, s[0:1]
	v_lshlrev_b64 v[8:9], 3, v[0:1]
	v_add_co_u32_e64 v8, s[0:1], v10, v8
	v_addc_co_u32_e64 v9, s[0:1], v5, v9, s[0:1]
	s_waitcnt vmcnt(0)
	global_store_dwordx2 v[8:9], v[6:7], off
	s_branch .LBB4_3
.LBB4_6:
	s_endpgm
	.section	.rodata,"a",@progbits
	.p2align	6, 0x0
	.amdhsa_kernel _ZN9rocsparseL16ell2dense_kernelILi16ELi32EidEEv21rocsparse_index_base_T1_S2_S2_PKT2_PKS2_PS3_l16rocsparse_order_
		.amdhsa_group_segment_fixed_size 0
		.amdhsa_private_segment_fixed_size 0
		.amdhsa_kernarg_size 52
		.amdhsa_user_sgpr_count 6
		.amdhsa_user_sgpr_private_segment_buffer 1
		.amdhsa_user_sgpr_dispatch_ptr 0
		.amdhsa_user_sgpr_queue_ptr 0
		.amdhsa_user_sgpr_kernarg_segment_ptr 1
		.amdhsa_user_sgpr_dispatch_id 0
		.amdhsa_user_sgpr_flat_scratch_init 0
		.amdhsa_user_sgpr_private_segment_size 0
		.amdhsa_uses_dynamic_stack 0
		.amdhsa_system_sgpr_private_segment_wavefront_offset 0
		.amdhsa_system_sgpr_workgroup_id_x 1
		.amdhsa_system_sgpr_workgroup_id_y 0
		.amdhsa_system_sgpr_workgroup_id_z 0
		.amdhsa_system_sgpr_workgroup_info 0
		.amdhsa_system_vgpr_workitem_id 0
		.amdhsa_next_free_vgpr 11
		.amdhsa_next_free_sgpr 20
		.amdhsa_reserve_vcc 1
		.amdhsa_reserve_flat_scratch 0
		.amdhsa_float_round_mode_32 0
		.amdhsa_float_round_mode_16_64 0
		.amdhsa_float_denorm_mode_32 3
		.amdhsa_float_denorm_mode_16_64 3
		.amdhsa_dx10_clamp 1
		.amdhsa_ieee_mode 1
		.amdhsa_fp16_overflow 0
		.amdhsa_exception_fp_ieee_invalid_op 0
		.amdhsa_exception_fp_denorm_src 0
		.amdhsa_exception_fp_ieee_div_zero 0
		.amdhsa_exception_fp_ieee_overflow 0
		.amdhsa_exception_fp_ieee_underflow 0
		.amdhsa_exception_fp_ieee_inexact 0
		.amdhsa_exception_int_div_zero 0
	.end_amdhsa_kernel
	.section	.text._ZN9rocsparseL16ell2dense_kernelILi16ELi32EidEEv21rocsparse_index_base_T1_S2_S2_PKT2_PKS2_PS3_l16rocsparse_order_,"axG",@progbits,_ZN9rocsparseL16ell2dense_kernelILi16ELi32EidEEv21rocsparse_index_base_T1_S2_S2_PKT2_PKS2_PS3_l16rocsparse_order_,comdat
.Lfunc_end4:
	.size	_ZN9rocsparseL16ell2dense_kernelILi16ELi32EidEEv21rocsparse_index_base_T1_S2_S2_PKT2_PKS2_PS3_l16rocsparse_order_, .Lfunc_end4-_ZN9rocsparseL16ell2dense_kernelILi16ELi32EidEEv21rocsparse_index_base_T1_S2_S2_PKT2_PKS2_PS3_l16rocsparse_order_
                                        ; -- End function
	.set _ZN9rocsparseL16ell2dense_kernelILi16ELi32EidEEv21rocsparse_index_base_T1_S2_S2_PKT2_PKS2_PS3_l16rocsparse_order_.num_vgpr, 11
	.set _ZN9rocsparseL16ell2dense_kernelILi16ELi32EidEEv21rocsparse_index_base_T1_S2_S2_PKT2_PKS2_PS3_l16rocsparse_order_.num_agpr, 0
	.set _ZN9rocsparseL16ell2dense_kernelILi16ELi32EidEEv21rocsparse_index_base_T1_S2_S2_PKT2_PKS2_PS3_l16rocsparse_order_.numbered_sgpr, 20
	.set _ZN9rocsparseL16ell2dense_kernelILi16ELi32EidEEv21rocsparse_index_base_T1_S2_S2_PKT2_PKS2_PS3_l16rocsparse_order_.num_named_barrier, 0
	.set _ZN9rocsparseL16ell2dense_kernelILi16ELi32EidEEv21rocsparse_index_base_T1_S2_S2_PKT2_PKS2_PS3_l16rocsparse_order_.private_seg_size, 0
	.set _ZN9rocsparseL16ell2dense_kernelILi16ELi32EidEEv21rocsparse_index_base_T1_S2_S2_PKT2_PKS2_PS3_l16rocsparse_order_.uses_vcc, 1
	.set _ZN9rocsparseL16ell2dense_kernelILi16ELi32EidEEv21rocsparse_index_base_T1_S2_S2_PKT2_PKS2_PS3_l16rocsparse_order_.uses_flat_scratch, 0
	.set _ZN9rocsparseL16ell2dense_kernelILi16ELi32EidEEv21rocsparse_index_base_T1_S2_S2_PKT2_PKS2_PS3_l16rocsparse_order_.has_dyn_sized_stack, 0
	.set _ZN9rocsparseL16ell2dense_kernelILi16ELi32EidEEv21rocsparse_index_base_T1_S2_S2_PKT2_PKS2_PS3_l16rocsparse_order_.has_recursion, 0
	.set _ZN9rocsparseL16ell2dense_kernelILi16ELi32EidEEv21rocsparse_index_base_T1_S2_S2_PKT2_PKS2_PS3_l16rocsparse_order_.has_indirect_call, 0
	.section	.AMDGPU.csdata,"",@progbits
; Kernel info:
; codeLenInByte = 340
; TotalNumSgprs: 24
; NumVgprs: 11
; ScratchSize: 0
; MemoryBound: 0
; FloatMode: 240
; IeeeMode: 1
; LDSByteSize: 0 bytes/workgroup (compile time only)
; SGPRBlocks: 2
; VGPRBlocks: 2
; NumSGPRsForWavesPerEU: 24
; NumVGPRsForWavesPerEU: 11
; Occupancy: 10
; WaveLimiterHint : 1
; COMPUTE_PGM_RSRC2:SCRATCH_EN: 0
; COMPUTE_PGM_RSRC2:USER_SGPR: 6
; COMPUTE_PGM_RSRC2:TRAP_HANDLER: 0
; COMPUTE_PGM_RSRC2:TGID_X_EN: 1
; COMPUTE_PGM_RSRC2:TGID_Y_EN: 0
; COMPUTE_PGM_RSRC2:TGID_Z_EN: 0
; COMPUTE_PGM_RSRC2:TIDIG_COMP_CNT: 0
	.section	.text._ZN9rocsparseL16ell2dense_kernelILi16ELi64EidEEv21rocsparse_index_base_T1_S2_S2_PKT2_PKS2_PS3_l16rocsparse_order_,"axG",@progbits,_ZN9rocsparseL16ell2dense_kernelILi16ELi64EidEEv21rocsparse_index_base_T1_S2_S2_PKT2_PKS2_PS3_l16rocsparse_order_,comdat
	.globl	_ZN9rocsparseL16ell2dense_kernelILi16ELi64EidEEv21rocsparse_index_base_T1_S2_S2_PKT2_PKS2_PS3_l16rocsparse_order_ ; -- Begin function _ZN9rocsparseL16ell2dense_kernelILi16ELi64EidEEv21rocsparse_index_base_T1_S2_S2_PKT2_PKS2_PS3_l16rocsparse_order_
	.p2align	8
	.type	_ZN9rocsparseL16ell2dense_kernelILi16ELi64EidEEv21rocsparse_index_base_T1_S2_S2_PKT2_PKS2_PS3_l16rocsparse_order_,@function
_ZN9rocsparseL16ell2dense_kernelILi16ELi64EidEEv21rocsparse_index_base_T1_S2_S2_PKT2_PKS2_PS3_l16rocsparse_order_: ; @_ZN9rocsparseL16ell2dense_kernelILi16ELi64EidEEv21rocsparse_index_base_T1_S2_S2_PKT2_PKS2_PS3_l16rocsparse_order_
; %bb.0:
	s_load_dwordx4 s[16:19], s[4:5], 0x0
	v_lshrrev_b32_e32 v1, 6, v0
	v_lshl_or_b32 v1, s6, 4, v1
	s_waitcnt lgkmcnt(0)
	v_cmp_gt_u32_e32 vcc, s19, v1
	s_and_saveexec_b64 s[0:1], vcc
	s_cbranch_execz .LBB5_6
; %bb.1:
	v_and_b32_e32 v2, 63, v0
	v_cmp_gt_i32_e32 vcc, s17, v2
	s_and_b64 exec, exec, vcc
	s_cbranch_execz .LBB5_6
; %bb.2:
	s_load_dword s0, s[4:5], 0x30
	s_load_dwordx8 s[8:15], s[4:5], 0x10
	v_mul_lo_u32 v3, s17, v1
	s_mov_b64 s[4:5], 0
	v_mov_b32_e32 v1, 0
	s_waitcnt lgkmcnt(0)
	s_cmp_eq_u32 s0, 1
	s_cselect_b64 vcc, -1, 0
	v_mov_b32_e32 v4, s11
	s_branch .LBB5_4
.LBB5_3:                                ;   in Loop: Header=BB5_4 Depth=1
	s_or_b64 exec, exec, s[2:3]
	v_add_u32_e32 v2, 64, v2
	v_cmp_le_i32_e64 s[0:1], s17, v2
	s_or_b64 s[4:5], s[0:1], s[4:5]
	s_andn2_b64 exec, exec, s[4:5]
	s_cbranch_execz .LBB5_6
.LBB5_4:                                ; =>This Inner Loop Header: Depth=1
	v_add_u32_e32 v0, v3, v2
	v_lshlrev_b64 v[5:6], 2, v[0:1]
	v_add_co_u32_e64 v5, s[0:1], s10, v5
	v_addc_co_u32_e64 v6, s[0:1], v4, v6, s[0:1]
	global_load_dword v5, v[5:6], off
	s_waitcnt vmcnt(0)
	v_subrev_u32_e32 v5, s16, v5
	v_cmp_lt_i32_e64 s[0:1], -1, v5
	v_cmp_gt_i32_e64 s[2:3], s18, v5
	s_and_b64 s[0:1], s[0:1], s[2:3]
	s_and_saveexec_b64 s[2:3], s[0:1]
	s_cbranch_execz .LBB5_3
; %bb.5:                                ;   in Loop: Header=BB5_4 Depth=1
	v_lshlrev_b64 v[6:7], 3, v[0:1]
	v_mov_b32_e32 v0, s9
	v_add_co_u32_e64 v6, s[0:1], s8, v6
	v_addc_co_u32_e64 v7, s[0:1], v0, v7, s[0:1]
	global_load_dwordx2 v[6:7], v[6:7], off
	v_cndmask_b32_e32 v10, v2, v5, vcc
	v_mad_u64_u32 v[8:9], s[0:1], s14, v10, 0
	v_mov_b32_e32 v0, v9
	v_mad_u64_u32 v[9:10], s[0:1], s15, v10, v[0:1]
	v_cndmask_b32_e32 v0, v5, v2, vcc
	v_mov_b32_e32 v5, s13
	v_lshlrev_b64 v[8:9], 3, v[8:9]
	v_add_co_u32_e64 v10, s[0:1], s12, v8
	v_addc_co_u32_e64 v5, s[0:1], v5, v9, s[0:1]
	v_lshlrev_b64 v[8:9], 3, v[0:1]
	v_add_co_u32_e64 v8, s[0:1], v10, v8
	v_addc_co_u32_e64 v9, s[0:1], v5, v9, s[0:1]
	s_waitcnt vmcnt(0)
	global_store_dwordx2 v[8:9], v[6:7], off
	s_branch .LBB5_3
.LBB5_6:
	s_endpgm
	.section	.rodata,"a",@progbits
	.p2align	6, 0x0
	.amdhsa_kernel _ZN9rocsparseL16ell2dense_kernelILi16ELi64EidEEv21rocsparse_index_base_T1_S2_S2_PKT2_PKS2_PS3_l16rocsparse_order_
		.amdhsa_group_segment_fixed_size 0
		.amdhsa_private_segment_fixed_size 0
		.amdhsa_kernarg_size 52
		.amdhsa_user_sgpr_count 6
		.amdhsa_user_sgpr_private_segment_buffer 1
		.amdhsa_user_sgpr_dispatch_ptr 0
		.amdhsa_user_sgpr_queue_ptr 0
		.amdhsa_user_sgpr_kernarg_segment_ptr 1
		.amdhsa_user_sgpr_dispatch_id 0
		.amdhsa_user_sgpr_flat_scratch_init 0
		.amdhsa_user_sgpr_private_segment_size 0
		.amdhsa_uses_dynamic_stack 0
		.amdhsa_system_sgpr_private_segment_wavefront_offset 0
		.amdhsa_system_sgpr_workgroup_id_x 1
		.amdhsa_system_sgpr_workgroup_id_y 0
		.amdhsa_system_sgpr_workgroup_id_z 0
		.amdhsa_system_sgpr_workgroup_info 0
		.amdhsa_system_vgpr_workitem_id 0
		.amdhsa_next_free_vgpr 11
		.amdhsa_next_free_sgpr 20
		.amdhsa_reserve_vcc 1
		.amdhsa_reserve_flat_scratch 0
		.amdhsa_float_round_mode_32 0
		.amdhsa_float_round_mode_16_64 0
		.amdhsa_float_denorm_mode_32 3
		.amdhsa_float_denorm_mode_16_64 3
		.amdhsa_dx10_clamp 1
		.amdhsa_ieee_mode 1
		.amdhsa_fp16_overflow 0
		.amdhsa_exception_fp_ieee_invalid_op 0
		.amdhsa_exception_fp_denorm_src 0
		.amdhsa_exception_fp_ieee_div_zero 0
		.amdhsa_exception_fp_ieee_overflow 0
		.amdhsa_exception_fp_ieee_underflow 0
		.amdhsa_exception_fp_ieee_inexact 0
		.amdhsa_exception_int_div_zero 0
	.end_amdhsa_kernel
	.section	.text._ZN9rocsparseL16ell2dense_kernelILi16ELi64EidEEv21rocsparse_index_base_T1_S2_S2_PKT2_PKS2_PS3_l16rocsparse_order_,"axG",@progbits,_ZN9rocsparseL16ell2dense_kernelILi16ELi64EidEEv21rocsparse_index_base_T1_S2_S2_PKT2_PKS2_PS3_l16rocsparse_order_,comdat
.Lfunc_end5:
	.size	_ZN9rocsparseL16ell2dense_kernelILi16ELi64EidEEv21rocsparse_index_base_T1_S2_S2_PKT2_PKS2_PS3_l16rocsparse_order_, .Lfunc_end5-_ZN9rocsparseL16ell2dense_kernelILi16ELi64EidEEv21rocsparse_index_base_T1_S2_S2_PKT2_PKS2_PS3_l16rocsparse_order_
                                        ; -- End function
	.set _ZN9rocsparseL16ell2dense_kernelILi16ELi64EidEEv21rocsparse_index_base_T1_S2_S2_PKT2_PKS2_PS3_l16rocsparse_order_.num_vgpr, 11
	.set _ZN9rocsparseL16ell2dense_kernelILi16ELi64EidEEv21rocsparse_index_base_T1_S2_S2_PKT2_PKS2_PS3_l16rocsparse_order_.num_agpr, 0
	.set _ZN9rocsparseL16ell2dense_kernelILi16ELi64EidEEv21rocsparse_index_base_T1_S2_S2_PKT2_PKS2_PS3_l16rocsparse_order_.numbered_sgpr, 20
	.set _ZN9rocsparseL16ell2dense_kernelILi16ELi64EidEEv21rocsparse_index_base_T1_S2_S2_PKT2_PKS2_PS3_l16rocsparse_order_.num_named_barrier, 0
	.set _ZN9rocsparseL16ell2dense_kernelILi16ELi64EidEEv21rocsparse_index_base_T1_S2_S2_PKT2_PKS2_PS3_l16rocsparse_order_.private_seg_size, 0
	.set _ZN9rocsparseL16ell2dense_kernelILi16ELi64EidEEv21rocsparse_index_base_T1_S2_S2_PKT2_PKS2_PS3_l16rocsparse_order_.uses_vcc, 1
	.set _ZN9rocsparseL16ell2dense_kernelILi16ELi64EidEEv21rocsparse_index_base_T1_S2_S2_PKT2_PKS2_PS3_l16rocsparse_order_.uses_flat_scratch, 0
	.set _ZN9rocsparseL16ell2dense_kernelILi16ELi64EidEEv21rocsparse_index_base_T1_S2_S2_PKT2_PKS2_PS3_l16rocsparse_order_.has_dyn_sized_stack, 0
	.set _ZN9rocsparseL16ell2dense_kernelILi16ELi64EidEEv21rocsparse_index_base_T1_S2_S2_PKT2_PKS2_PS3_l16rocsparse_order_.has_recursion, 0
	.set _ZN9rocsparseL16ell2dense_kernelILi16ELi64EidEEv21rocsparse_index_base_T1_S2_S2_PKT2_PKS2_PS3_l16rocsparse_order_.has_indirect_call, 0
	.section	.AMDGPU.csdata,"",@progbits
; Kernel info:
; codeLenInByte = 340
; TotalNumSgprs: 24
; NumVgprs: 11
; ScratchSize: 0
; MemoryBound: 0
; FloatMode: 240
; IeeeMode: 1
; LDSByteSize: 0 bytes/workgroup (compile time only)
; SGPRBlocks: 2
; VGPRBlocks: 2
; NumSGPRsForWavesPerEU: 24
; NumVGPRsForWavesPerEU: 11
; Occupancy: 10
; WaveLimiterHint : 1
; COMPUTE_PGM_RSRC2:SCRATCH_EN: 0
; COMPUTE_PGM_RSRC2:USER_SGPR: 6
; COMPUTE_PGM_RSRC2:TRAP_HANDLER: 0
; COMPUTE_PGM_RSRC2:TGID_X_EN: 1
; COMPUTE_PGM_RSRC2:TGID_Y_EN: 0
; COMPUTE_PGM_RSRC2:TGID_Z_EN: 0
; COMPUTE_PGM_RSRC2:TIDIG_COMP_CNT: 0
	.section	.text._ZN9rocsparseL16ell2dense_kernelILi16ELi32Ei21rocsparse_complex_numIfEEEv21rocsparse_index_base_T1_S4_S4_PKT2_PKS4_PS5_l16rocsparse_order_,"axG",@progbits,_ZN9rocsparseL16ell2dense_kernelILi16ELi32Ei21rocsparse_complex_numIfEEEv21rocsparse_index_base_T1_S4_S4_PKT2_PKS4_PS5_l16rocsparse_order_,comdat
	.globl	_ZN9rocsparseL16ell2dense_kernelILi16ELi32Ei21rocsparse_complex_numIfEEEv21rocsparse_index_base_T1_S4_S4_PKT2_PKS4_PS5_l16rocsparse_order_ ; -- Begin function _ZN9rocsparseL16ell2dense_kernelILi16ELi32Ei21rocsparse_complex_numIfEEEv21rocsparse_index_base_T1_S4_S4_PKT2_PKS4_PS5_l16rocsparse_order_
	.p2align	8
	.type	_ZN9rocsparseL16ell2dense_kernelILi16ELi32Ei21rocsparse_complex_numIfEEEv21rocsparse_index_base_T1_S4_S4_PKT2_PKS4_PS5_l16rocsparse_order_,@function
_ZN9rocsparseL16ell2dense_kernelILi16ELi32Ei21rocsparse_complex_numIfEEEv21rocsparse_index_base_T1_S4_S4_PKT2_PKS4_PS5_l16rocsparse_order_: ; @_ZN9rocsparseL16ell2dense_kernelILi16ELi32Ei21rocsparse_complex_numIfEEEv21rocsparse_index_base_T1_S4_S4_PKT2_PKS4_PS5_l16rocsparse_order_
; %bb.0:
	s_load_dwordx4 s[16:19], s[4:5], 0x0
	v_lshrrev_b32_e32 v1, 5, v0
	v_lshl_or_b32 v1, s6, 4, v1
	s_waitcnt lgkmcnt(0)
	v_cmp_gt_u32_e32 vcc, s19, v1
	s_and_saveexec_b64 s[0:1], vcc
	s_cbranch_execz .LBB6_6
; %bb.1:
	v_and_b32_e32 v2, 31, v0
	v_cmp_gt_i32_e32 vcc, s17, v2
	s_and_b64 exec, exec, vcc
	s_cbranch_execz .LBB6_6
; %bb.2:
	s_load_dword s0, s[4:5], 0x30
	s_load_dwordx8 s[8:15], s[4:5], 0x10
	v_mul_lo_u32 v3, s17, v1
	s_mov_b64 s[4:5], 0
	v_mov_b32_e32 v1, 0
	s_waitcnt lgkmcnt(0)
	s_cmp_eq_u32 s0, 1
	s_cselect_b64 vcc, -1, 0
	v_mov_b32_e32 v4, s11
	s_branch .LBB6_4
.LBB6_3:                                ;   in Loop: Header=BB6_4 Depth=1
	s_or_b64 exec, exec, s[2:3]
	v_add_u32_e32 v2, 32, v2
	v_cmp_le_i32_e64 s[0:1], s17, v2
	s_or_b64 s[4:5], s[0:1], s[4:5]
	s_andn2_b64 exec, exec, s[4:5]
	s_cbranch_execz .LBB6_6
.LBB6_4:                                ; =>This Inner Loop Header: Depth=1
	v_add_u32_e32 v0, v3, v2
	v_lshlrev_b64 v[5:6], 2, v[0:1]
	v_add_co_u32_e64 v5, s[0:1], s10, v5
	v_addc_co_u32_e64 v6, s[0:1], v4, v6, s[0:1]
	global_load_dword v5, v[5:6], off
	s_waitcnt vmcnt(0)
	v_subrev_u32_e32 v5, s16, v5
	v_cmp_lt_i32_e64 s[0:1], -1, v5
	v_cmp_gt_i32_e64 s[2:3], s18, v5
	s_and_b64 s[0:1], s[0:1], s[2:3]
	s_and_saveexec_b64 s[2:3], s[0:1]
	s_cbranch_execz .LBB6_3
; %bb.5:                                ;   in Loop: Header=BB6_4 Depth=1
	v_lshlrev_b64 v[6:7], 3, v[0:1]
	v_mov_b32_e32 v0, s9
	v_add_co_u32_e64 v6, s[0:1], s8, v6
	v_addc_co_u32_e64 v7, s[0:1], v0, v7, s[0:1]
	global_load_dwordx2 v[6:7], v[6:7], off
	v_cndmask_b32_e32 v10, v2, v5, vcc
	v_mad_u64_u32 v[8:9], s[0:1], s14, v10, 0
	v_mov_b32_e32 v0, v9
	v_mad_u64_u32 v[9:10], s[0:1], s15, v10, v[0:1]
	v_cndmask_b32_e32 v0, v5, v2, vcc
	v_mov_b32_e32 v5, s13
	v_lshlrev_b64 v[8:9], 3, v[8:9]
	v_add_co_u32_e64 v10, s[0:1], s12, v8
	v_addc_co_u32_e64 v5, s[0:1], v5, v9, s[0:1]
	v_lshlrev_b64 v[8:9], 3, v[0:1]
	v_add_co_u32_e64 v8, s[0:1], v10, v8
	v_addc_co_u32_e64 v9, s[0:1], v5, v9, s[0:1]
	s_waitcnt vmcnt(0)
	global_store_dwordx2 v[8:9], v[6:7], off
	s_branch .LBB6_3
.LBB6_6:
	s_endpgm
	.section	.rodata,"a",@progbits
	.p2align	6, 0x0
	.amdhsa_kernel _ZN9rocsparseL16ell2dense_kernelILi16ELi32Ei21rocsparse_complex_numIfEEEv21rocsparse_index_base_T1_S4_S4_PKT2_PKS4_PS5_l16rocsparse_order_
		.amdhsa_group_segment_fixed_size 0
		.amdhsa_private_segment_fixed_size 0
		.amdhsa_kernarg_size 52
		.amdhsa_user_sgpr_count 6
		.amdhsa_user_sgpr_private_segment_buffer 1
		.amdhsa_user_sgpr_dispatch_ptr 0
		.amdhsa_user_sgpr_queue_ptr 0
		.amdhsa_user_sgpr_kernarg_segment_ptr 1
		.amdhsa_user_sgpr_dispatch_id 0
		.amdhsa_user_sgpr_flat_scratch_init 0
		.amdhsa_user_sgpr_private_segment_size 0
		.amdhsa_uses_dynamic_stack 0
		.amdhsa_system_sgpr_private_segment_wavefront_offset 0
		.amdhsa_system_sgpr_workgroup_id_x 1
		.amdhsa_system_sgpr_workgroup_id_y 0
		.amdhsa_system_sgpr_workgroup_id_z 0
		.amdhsa_system_sgpr_workgroup_info 0
		.amdhsa_system_vgpr_workitem_id 0
		.amdhsa_next_free_vgpr 11
		.amdhsa_next_free_sgpr 20
		.amdhsa_reserve_vcc 1
		.amdhsa_reserve_flat_scratch 0
		.amdhsa_float_round_mode_32 0
		.amdhsa_float_round_mode_16_64 0
		.amdhsa_float_denorm_mode_32 3
		.amdhsa_float_denorm_mode_16_64 3
		.amdhsa_dx10_clamp 1
		.amdhsa_ieee_mode 1
		.amdhsa_fp16_overflow 0
		.amdhsa_exception_fp_ieee_invalid_op 0
		.amdhsa_exception_fp_denorm_src 0
		.amdhsa_exception_fp_ieee_div_zero 0
		.amdhsa_exception_fp_ieee_overflow 0
		.amdhsa_exception_fp_ieee_underflow 0
		.amdhsa_exception_fp_ieee_inexact 0
		.amdhsa_exception_int_div_zero 0
	.end_amdhsa_kernel
	.section	.text._ZN9rocsparseL16ell2dense_kernelILi16ELi32Ei21rocsparse_complex_numIfEEEv21rocsparse_index_base_T1_S4_S4_PKT2_PKS4_PS5_l16rocsparse_order_,"axG",@progbits,_ZN9rocsparseL16ell2dense_kernelILi16ELi32Ei21rocsparse_complex_numIfEEEv21rocsparse_index_base_T1_S4_S4_PKT2_PKS4_PS5_l16rocsparse_order_,comdat
.Lfunc_end6:
	.size	_ZN9rocsparseL16ell2dense_kernelILi16ELi32Ei21rocsparse_complex_numIfEEEv21rocsparse_index_base_T1_S4_S4_PKT2_PKS4_PS5_l16rocsparse_order_, .Lfunc_end6-_ZN9rocsparseL16ell2dense_kernelILi16ELi32Ei21rocsparse_complex_numIfEEEv21rocsparse_index_base_T1_S4_S4_PKT2_PKS4_PS5_l16rocsparse_order_
                                        ; -- End function
	.set _ZN9rocsparseL16ell2dense_kernelILi16ELi32Ei21rocsparse_complex_numIfEEEv21rocsparse_index_base_T1_S4_S4_PKT2_PKS4_PS5_l16rocsparse_order_.num_vgpr, 11
	.set _ZN9rocsparseL16ell2dense_kernelILi16ELi32Ei21rocsparse_complex_numIfEEEv21rocsparse_index_base_T1_S4_S4_PKT2_PKS4_PS5_l16rocsparse_order_.num_agpr, 0
	.set _ZN9rocsparseL16ell2dense_kernelILi16ELi32Ei21rocsparse_complex_numIfEEEv21rocsparse_index_base_T1_S4_S4_PKT2_PKS4_PS5_l16rocsparse_order_.numbered_sgpr, 20
	.set _ZN9rocsparseL16ell2dense_kernelILi16ELi32Ei21rocsparse_complex_numIfEEEv21rocsparse_index_base_T1_S4_S4_PKT2_PKS4_PS5_l16rocsparse_order_.num_named_barrier, 0
	.set _ZN9rocsparseL16ell2dense_kernelILi16ELi32Ei21rocsparse_complex_numIfEEEv21rocsparse_index_base_T1_S4_S4_PKT2_PKS4_PS5_l16rocsparse_order_.private_seg_size, 0
	.set _ZN9rocsparseL16ell2dense_kernelILi16ELi32Ei21rocsparse_complex_numIfEEEv21rocsparse_index_base_T1_S4_S4_PKT2_PKS4_PS5_l16rocsparse_order_.uses_vcc, 1
	.set _ZN9rocsparseL16ell2dense_kernelILi16ELi32Ei21rocsparse_complex_numIfEEEv21rocsparse_index_base_T1_S4_S4_PKT2_PKS4_PS5_l16rocsparse_order_.uses_flat_scratch, 0
	.set _ZN9rocsparseL16ell2dense_kernelILi16ELi32Ei21rocsparse_complex_numIfEEEv21rocsparse_index_base_T1_S4_S4_PKT2_PKS4_PS5_l16rocsparse_order_.has_dyn_sized_stack, 0
	.set _ZN9rocsparseL16ell2dense_kernelILi16ELi32Ei21rocsparse_complex_numIfEEEv21rocsparse_index_base_T1_S4_S4_PKT2_PKS4_PS5_l16rocsparse_order_.has_recursion, 0
	.set _ZN9rocsparseL16ell2dense_kernelILi16ELi32Ei21rocsparse_complex_numIfEEEv21rocsparse_index_base_T1_S4_S4_PKT2_PKS4_PS5_l16rocsparse_order_.has_indirect_call, 0
	.section	.AMDGPU.csdata,"",@progbits
; Kernel info:
; codeLenInByte = 340
; TotalNumSgprs: 24
; NumVgprs: 11
; ScratchSize: 0
; MemoryBound: 0
; FloatMode: 240
; IeeeMode: 1
; LDSByteSize: 0 bytes/workgroup (compile time only)
; SGPRBlocks: 2
; VGPRBlocks: 2
; NumSGPRsForWavesPerEU: 24
; NumVGPRsForWavesPerEU: 11
; Occupancy: 10
; WaveLimiterHint : 1
; COMPUTE_PGM_RSRC2:SCRATCH_EN: 0
; COMPUTE_PGM_RSRC2:USER_SGPR: 6
; COMPUTE_PGM_RSRC2:TRAP_HANDLER: 0
; COMPUTE_PGM_RSRC2:TGID_X_EN: 1
; COMPUTE_PGM_RSRC2:TGID_Y_EN: 0
; COMPUTE_PGM_RSRC2:TGID_Z_EN: 0
; COMPUTE_PGM_RSRC2:TIDIG_COMP_CNT: 0
	.section	.text._ZN9rocsparseL16ell2dense_kernelILi16ELi64Ei21rocsparse_complex_numIfEEEv21rocsparse_index_base_T1_S4_S4_PKT2_PKS4_PS5_l16rocsparse_order_,"axG",@progbits,_ZN9rocsparseL16ell2dense_kernelILi16ELi64Ei21rocsparse_complex_numIfEEEv21rocsparse_index_base_T1_S4_S4_PKT2_PKS4_PS5_l16rocsparse_order_,comdat
	.globl	_ZN9rocsparseL16ell2dense_kernelILi16ELi64Ei21rocsparse_complex_numIfEEEv21rocsparse_index_base_T1_S4_S4_PKT2_PKS4_PS5_l16rocsparse_order_ ; -- Begin function _ZN9rocsparseL16ell2dense_kernelILi16ELi64Ei21rocsparse_complex_numIfEEEv21rocsparse_index_base_T1_S4_S4_PKT2_PKS4_PS5_l16rocsparse_order_
	.p2align	8
	.type	_ZN9rocsparseL16ell2dense_kernelILi16ELi64Ei21rocsparse_complex_numIfEEEv21rocsparse_index_base_T1_S4_S4_PKT2_PKS4_PS5_l16rocsparse_order_,@function
_ZN9rocsparseL16ell2dense_kernelILi16ELi64Ei21rocsparse_complex_numIfEEEv21rocsparse_index_base_T1_S4_S4_PKT2_PKS4_PS5_l16rocsparse_order_: ; @_ZN9rocsparseL16ell2dense_kernelILi16ELi64Ei21rocsparse_complex_numIfEEEv21rocsparse_index_base_T1_S4_S4_PKT2_PKS4_PS5_l16rocsparse_order_
; %bb.0:
	s_load_dwordx4 s[16:19], s[4:5], 0x0
	v_lshrrev_b32_e32 v1, 6, v0
	v_lshl_or_b32 v1, s6, 4, v1
	s_waitcnt lgkmcnt(0)
	v_cmp_gt_u32_e32 vcc, s19, v1
	s_and_saveexec_b64 s[0:1], vcc
	s_cbranch_execz .LBB7_6
; %bb.1:
	v_and_b32_e32 v2, 63, v0
	v_cmp_gt_i32_e32 vcc, s17, v2
	s_and_b64 exec, exec, vcc
	s_cbranch_execz .LBB7_6
; %bb.2:
	s_load_dword s0, s[4:5], 0x30
	s_load_dwordx8 s[8:15], s[4:5], 0x10
	v_mul_lo_u32 v3, s17, v1
	s_mov_b64 s[4:5], 0
	v_mov_b32_e32 v1, 0
	s_waitcnt lgkmcnt(0)
	s_cmp_eq_u32 s0, 1
	s_cselect_b64 vcc, -1, 0
	v_mov_b32_e32 v4, s11
	s_branch .LBB7_4
.LBB7_3:                                ;   in Loop: Header=BB7_4 Depth=1
	s_or_b64 exec, exec, s[2:3]
	v_add_u32_e32 v2, 64, v2
	v_cmp_le_i32_e64 s[0:1], s17, v2
	s_or_b64 s[4:5], s[0:1], s[4:5]
	s_andn2_b64 exec, exec, s[4:5]
	s_cbranch_execz .LBB7_6
.LBB7_4:                                ; =>This Inner Loop Header: Depth=1
	v_add_u32_e32 v0, v3, v2
	v_lshlrev_b64 v[5:6], 2, v[0:1]
	v_add_co_u32_e64 v5, s[0:1], s10, v5
	v_addc_co_u32_e64 v6, s[0:1], v4, v6, s[0:1]
	global_load_dword v5, v[5:6], off
	s_waitcnt vmcnt(0)
	v_subrev_u32_e32 v5, s16, v5
	v_cmp_lt_i32_e64 s[0:1], -1, v5
	v_cmp_gt_i32_e64 s[2:3], s18, v5
	s_and_b64 s[0:1], s[0:1], s[2:3]
	s_and_saveexec_b64 s[2:3], s[0:1]
	s_cbranch_execz .LBB7_3
; %bb.5:                                ;   in Loop: Header=BB7_4 Depth=1
	v_lshlrev_b64 v[6:7], 3, v[0:1]
	v_mov_b32_e32 v0, s9
	v_add_co_u32_e64 v6, s[0:1], s8, v6
	v_addc_co_u32_e64 v7, s[0:1], v0, v7, s[0:1]
	global_load_dwordx2 v[6:7], v[6:7], off
	v_cndmask_b32_e32 v10, v2, v5, vcc
	v_mad_u64_u32 v[8:9], s[0:1], s14, v10, 0
	v_mov_b32_e32 v0, v9
	v_mad_u64_u32 v[9:10], s[0:1], s15, v10, v[0:1]
	v_cndmask_b32_e32 v0, v5, v2, vcc
	v_mov_b32_e32 v5, s13
	v_lshlrev_b64 v[8:9], 3, v[8:9]
	v_add_co_u32_e64 v10, s[0:1], s12, v8
	v_addc_co_u32_e64 v5, s[0:1], v5, v9, s[0:1]
	v_lshlrev_b64 v[8:9], 3, v[0:1]
	v_add_co_u32_e64 v8, s[0:1], v10, v8
	v_addc_co_u32_e64 v9, s[0:1], v5, v9, s[0:1]
	s_waitcnt vmcnt(0)
	global_store_dwordx2 v[8:9], v[6:7], off
	s_branch .LBB7_3
.LBB7_6:
	s_endpgm
	.section	.rodata,"a",@progbits
	.p2align	6, 0x0
	.amdhsa_kernel _ZN9rocsparseL16ell2dense_kernelILi16ELi64Ei21rocsparse_complex_numIfEEEv21rocsparse_index_base_T1_S4_S4_PKT2_PKS4_PS5_l16rocsparse_order_
		.amdhsa_group_segment_fixed_size 0
		.amdhsa_private_segment_fixed_size 0
		.amdhsa_kernarg_size 52
		.amdhsa_user_sgpr_count 6
		.amdhsa_user_sgpr_private_segment_buffer 1
		.amdhsa_user_sgpr_dispatch_ptr 0
		.amdhsa_user_sgpr_queue_ptr 0
		.amdhsa_user_sgpr_kernarg_segment_ptr 1
		.amdhsa_user_sgpr_dispatch_id 0
		.amdhsa_user_sgpr_flat_scratch_init 0
		.amdhsa_user_sgpr_private_segment_size 0
		.amdhsa_uses_dynamic_stack 0
		.amdhsa_system_sgpr_private_segment_wavefront_offset 0
		.amdhsa_system_sgpr_workgroup_id_x 1
		.amdhsa_system_sgpr_workgroup_id_y 0
		.amdhsa_system_sgpr_workgroup_id_z 0
		.amdhsa_system_sgpr_workgroup_info 0
		.amdhsa_system_vgpr_workitem_id 0
		.amdhsa_next_free_vgpr 11
		.amdhsa_next_free_sgpr 20
		.amdhsa_reserve_vcc 1
		.amdhsa_reserve_flat_scratch 0
		.amdhsa_float_round_mode_32 0
		.amdhsa_float_round_mode_16_64 0
		.amdhsa_float_denorm_mode_32 3
		.amdhsa_float_denorm_mode_16_64 3
		.amdhsa_dx10_clamp 1
		.amdhsa_ieee_mode 1
		.amdhsa_fp16_overflow 0
		.amdhsa_exception_fp_ieee_invalid_op 0
		.amdhsa_exception_fp_denorm_src 0
		.amdhsa_exception_fp_ieee_div_zero 0
		.amdhsa_exception_fp_ieee_overflow 0
		.amdhsa_exception_fp_ieee_underflow 0
		.amdhsa_exception_fp_ieee_inexact 0
		.amdhsa_exception_int_div_zero 0
	.end_amdhsa_kernel
	.section	.text._ZN9rocsparseL16ell2dense_kernelILi16ELi64Ei21rocsparse_complex_numIfEEEv21rocsparse_index_base_T1_S4_S4_PKT2_PKS4_PS5_l16rocsparse_order_,"axG",@progbits,_ZN9rocsparseL16ell2dense_kernelILi16ELi64Ei21rocsparse_complex_numIfEEEv21rocsparse_index_base_T1_S4_S4_PKT2_PKS4_PS5_l16rocsparse_order_,comdat
.Lfunc_end7:
	.size	_ZN9rocsparseL16ell2dense_kernelILi16ELi64Ei21rocsparse_complex_numIfEEEv21rocsparse_index_base_T1_S4_S4_PKT2_PKS4_PS5_l16rocsparse_order_, .Lfunc_end7-_ZN9rocsparseL16ell2dense_kernelILi16ELi64Ei21rocsparse_complex_numIfEEEv21rocsparse_index_base_T1_S4_S4_PKT2_PKS4_PS5_l16rocsparse_order_
                                        ; -- End function
	.set _ZN9rocsparseL16ell2dense_kernelILi16ELi64Ei21rocsparse_complex_numIfEEEv21rocsparse_index_base_T1_S4_S4_PKT2_PKS4_PS5_l16rocsparse_order_.num_vgpr, 11
	.set _ZN9rocsparseL16ell2dense_kernelILi16ELi64Ei21rocsparse_complex_numIfEEEv21rocsparse_index_base_T1_S4_S4_PKT2_PKS4_PS5_l16rocsparse_order_.num_agpr, 0
	.set _ZN9rocsparseL16ell2dense_kernelILi16ELi64Ei21rocsparse_complex_numIfEEEv21rocsparse_index_base_T1_S4_S4_PKT2_PKS4_PS5_l16rocsparse_order_.numbered_sgpr, 20
	.set _ZN9rocsparseL16ell2dense_kernelILi16ELi64Ei21rocsparse_complex_numIfEEEv21rocsparse_index_base_T1_S4_S4_PKT2_PKS4_PS5_l16rocsparse_order_.num_named_barrier, 0
	.set _ZN9rocsparseL16ell2dense_kernelILi16ELi64Ei21rocsparse_complex_numIfEEEv21rocsparse_index_base_T1_S4_S4_PKT2_PKS4_PS5_l16rocsparse_order_.private_seg_size, 0
	.set _ZN9rocsparseL16ell2dense_kernelILi16ELi64Ei21rocsparse_complex_numIfEEEv21rocsparse_index_base_T1_S4_S4_PKT2_PKS4_PS5_l16rocsparse_order_.uses_vcc, 1
	.set _ZN9rocsparseL16ell2dense_kernelILi16ELi64Ei21rocsparse_complex_numIfEEEv21rocsparse_index_base_T1_S4_S4_PKT2_PKS4_PS5_l16rocsparse_order_.uses_flat_scratch, 0
	.set _ZN9rocsparseL16ell2dense_kernelILi16ELi64Ei21rocsparse_complex_numIfEEEv21rocsparse_index_base_T1_S4_S4_PKT2_PKS4_PS5_l16rocsparse_order_.has_dyn_sized_stack, 0
	.set _ZN9rocsparseL16ell2dense_kernelILi16ELi64Ei21rocsparse_complex_numIfEEEv21rocsparse_index_base_T1_S4_S4_PKT2_PKS4_PS5_l16rocsparse_order_.has_recursion, 0
	.set _ZN9rocsparseL16ell2dense_kernelILi16ELi64Ei21rocsparse_complex_numIfEEEv21rocsparse_index_base_T1_S4_S4_PKT2_PKS4_PS5_l16rocsparse_order_.has_indirect_call, 0
	.section	.AMDGPU.csdata,"",@progbits
; Kernel info:
; codeLenInByte = 340
; TotalNumSgprs: 24
; NumVgprs: 11
; ScratchSize: 0
; MemoryBound: 0
; FloatMode: 240
; IeeeMode: 1
; LDSByteSize: 0 bytes/workgroup (compile time only)
; SGPRBlocks: 2
; VGPRBlocks: 2
; NumSGPRsForWavesPerEU: 24
; NumVGPRsForWavesPerEU: 11
; Occupancy: 10
; WaveLimiterHint : 1
; COMPUTE_PGM_RSRC2:SCRATCH_EN: 0
; COMPUTE_PGM_RSRC2:USER_SGPR: 6
; COMPUTE_PGM_RSRC2:TRAP_HANDLER: 0
; COMPUTE_PGM_RSRC2:TGID_X_EN: 1
; COMPUTE_PGM_RSRC2:TGID_Y_EN: 0
; COMPUTE_PGM_RSRC2:TGID_Z_EN: 0
; COMPUTE_PGM_RSRC2:TIDIG_COMP_CNT: 0
	.section	.text._ZN9rocsparseL16ell2dense_kernelILi16ELi32Ei21rocsparse_complex_numIdEEEv21rocsparse_index_base_T1_S4_S4_PKT2_PKS4_PS5_l16rocsparse_order_,"axG",@progbits,_ZN9rocsparseL16ell2dense_kernelILi16ELi32Ei21rocsparse_complex_numIdEEEv21rocsparse_index_base_T1_S4_S4_PKT2_PKS4_PS5_l16rocsparse_order_,comdat
	.globl	_ZN9rocsparseL16ell2dense_kernelILi16ELi32Ei21rocsparse_complex_numIdEEEv21rocsparse_index_base_T1_S4_S4_PKT2_PKS4_PS5_l16rocsparse_order_ ; -- Begin function _ZN9rocsparseL16ell2dense_kernelILi16ELi32Ei21rocsparse_complex_numIdEEEv21rocsparse_index_base_T1_S4_S4_PKT2_PKS4_PS5_l16rocsparse_order_
	.p2align	8
	.type	_ZN9rocsparseL16ell2dense_kernelILi16ELi32Ei21rocsparse_complex_numIdEEEv21rocsparse_index_base_T1_S4_S4_PKT2_PKS4_PS5_l16rocsparse_order_,@function
_ZN9rocsparseL16ell2dense_kernelILi16ELi32Ei21rocsparse_complex_numIdEEEv21rocsparse_index_base_T1_S4_S4_PKT2_PKS4_PS5_l16rocsparse_order_: ; @_ZN9rocsparseL16ell2dense_kernelILi16ELi32Ei21rocsparse_complex_numIdEEEv21rocsparse_index_base_T1_S4_S4_PKT2_PKS4_PS5_l16rocsparse_order_
; %bb.0:
	s_load_dwordx4 s[16:19], s[4:5], 0x0
	v_lshrrev_b32_e32 v1, 5, v0
	v_lshl_or_b32 v1, s6, 4, v1
	s_waitcnt lgkmcnt(0)
	v_cmp_gt_u32_e32 vcc, s19, v1
	s_and_saveexec_b64 s[0:1], vcc
	s_cbranch_execz .LBB8_6
; %bb.1:
	v_and_b32_e32 v2, 31, v0
	v_cmp_gt_i32_e32 vcc, s17, v2
	s_and_b64 exec, exec, vcc
	s_cbranch_execz .LBB8_6
; %bb.2:
	s_load_dword s0, s[4:5], 0x30
	s_load_dwordx8 s[8:15], s[4:5], 0x10
	v_mul_lo_u32 v3, s17, v1
	s_mov_b64 s[4:5], 0
	v_mov_b32_e32 v1, 0
	s_waitcnt lgkmcnt(0)
	s_cmp_eq_u32 s0, 1
	s_cselect_b64 vcc, -1, 0
	v_mov_b32_e32 v4, s11
	s_branch .LBB8_4
.LBB8_3:                                ;   in Loop: Header=BB8_4 Depth=1
	s_or_b64 exec, exec, s[2:3]
	v_add_u32_e32 v2, 32, v2
	v_cmp_le_i32_e64 s[0:1], s17, v2
	s_or_b64 s[4:5], s[0:1], s[4:5]
	s_andn2_b64 exec, exec, s[4:5]
	s_cbranch_execz .LBB8_6
.LBB8_4:                                ; =>This Inner Loop Header: Depth=1
	v_add_u32_e32 v0, v3, v2
	v_lshlrev_b64 v[5:6], 2, v[0:1]
	v_add_co_u32_e64 v5, s[0:1], s10, v5
	v_addc_co_u32_e64 v6, s[0:1], v4, v6, s[0:1]
	global_load_dword v5, v[5:6], off
	s_waitcnt vmcnt(0)
	v_subrev_u32_e32 v5, s16, v5
	v_cmp_lt_i32_e64 s[0:1], -1, v5
	v_cmp_gt_i32_e64 s[2:3], s18, v5
	s_and_b64 s[0:1], s[0:1], s[2:3]
	s_and_saveexec_b64 s[2:3], s[0:1]
	s_cbranch_execz .LBB8_3
; %bb.5:                                ;   in Loop: Header=BB8_4 Depth=1
	v_lshlrev_b64 v[6:7], 4, v[0:1]
	v_mov_b32_e32 v0, s9
	v_add_co_u32_e64 v6, s[0:1], s8, v6
	v_addc_co_u32_e64 v7, s[0:1], v0, v7, s[0:1]
	global_load_dwordx4 v[6:9], v[6:7], off
	v_cndmask_b32_e32 v12, v2, v5, vcc
	v_mad_u64_u32 v[10:11], s[0:1], s14, v12, 0
	v_mov_b32_e32 v0, v11
	v_mad_u64_u32 v[11:12], s[0:1], s15, v12, v[0:1]
	v_cndmask_b32_e32 v0, v5, v2, vcc
	v_mov_b32_e32 v5, s13
	v_lshlrev_b64 v[10:11], 4, v[10:11]
	v_add_co_u32_e64 v12, s[0:1], s12, v10
	v_addc_co_u32_e64 v5, s[0:1], v5, v11, s[0:1]
	v_lshlrev_b64 v[10:11], 4, v[0:1]
	v_add_co_u32_e64 v10, s[0:1], v12, v10
	v_addc_co_u32_e64 v11, s[0:1], v5, v11, s[0:1]
	s_waitcnt vmcnt(0)
	global_store_dwordx4 v[10:11], v[6:9], off
	s_branch .LBB8_3
.LBB8_6:
	s_endpgm
	.section	.rodata,"a",@progbits
	.p2align	6, 0x0
	.amdhsa_kernel _ZN9rocsparseL16ell2dense_kernelILi16ELi32Ei21rocsparse_complex_numIdEEEv21rocsparse_index_base_T1_S4_S4_PKT2_PKS4_PS5_l16rocsparse_order_
		.amdhsa_group_segment_fixed_size 0
		.amdhsa_private_segment_fixed_size 0
		.amdhsa_kernarg_size 52
		.amdhsa_user_sgpr_count 6
		.amdhsa_user_sgpr_private_segment_buffer 1
		.amdhsa_user_sgpr_dispatch_ptr 0
		.amdhsa_user_sgpr_queue_ptr 0
		.amdhsa_user_sgpr_kernarg_segment_ptr 1
		.amdhsa_user_sgpr_dispatch_id 0
		.amdhsa_user_sgpr_flat_scratch_init 0
		.amdhsa_user_sgpr_private_segment_size 0
		.amdhsa_uses_dynamic_stack 0
		.amdhsa_system_sgpr_private_segment_wavefront_offset 0
		.amdhsa_system_sgpr_workgroup_id_x 1
		.amdhsa_system_sgpr_workgroup_id_y 0
		.amdhsa_system_sgpr_workgroup_id_z 0
		.amdhsa_system_sgpr_workgroup_info 0
		.amdhsa_system_vgpr_workitem_id 0
		.amdhsa_next_free_vgpr 13
		.amdhsa_next_free_sgpr 20
		.amdhsa_reserve_vcc 1
		.amdhsa_reserve_flat_scratch 0
		.amdhsa_float_round_mode_32 0
		.amdhsa_float_round_mode_16_64 0
		.amdhsa_float_denorm_mode_32 3
		.amdhsa_float_denorm_mode_16_64 3
		.amdhsa_dx10_clamp 1
		.amdhsa_ieee_mode 1
		.amdhsa_fp16_overflow 0
		.amdhsa_exception_fp_ieee_invalid_op 0
		.amdhsa_exception_fp_denorm_src 0
		.amdhsa_exception_fp_ieee_div_zero 0
		.amdhsa_exception_fp_ieee_overflow 0
		.amdhsa_exception_fp_ieee_underflow 0
		.amdhsa_exception_fp_ieee_inexact 0
		.amdhsa_exception_int_div_zero 0
	.end_amdhsa_kernel
	.section	.text._ZN9rocsparseL16ell2dense_kernelILi16ELi32Ei21rocsparse_complex_numIdEEEv21rocsparse_index_base_T1_S4_S4_PKT2_PKS4_PS5_l16rocsparse_order_,"axG",@progbits,_ZN9rocsparseL16ell2dense_kernelILi16ELi32Ei21rocsparse_complex_numIdEEEv21rocsparse_index_base_T1_S4_S4_PKT2_PKS4_PS5_l16rocsparse_order_,comdat
.Lfunc_end8:
	.size	_ZN9rocsparseL16ell2dense_kernelILi16ELi32Ei21rocsparse_complex_numIdEEEv21rocsparse_index_base_T1_S4_S4_PKT2_PKS4_PS5_l16rocsparse_order_, .Lfunc_end8-_ZN9rocsparseL16ell2dense_kernelILi16ELi32Ei21rocsparse_complex_numIdEEEv21rocsparse_index_base_T1_S4_S4_PKT2_PKS4_PS5_l16rocsparse_order_
                                        ; -- End function
	.set _ZN9rocsparseL16ell2dense_kernelILi16ELi32Ei21rocsparse_complex_numIdEEEv21rocsparse_index_base_T1_S4_S4_PKT2_PKS4_PS5_l16rocsparse_order_.num_vgpr, 13
	.set _ZN9rocsparseL16ell2dense_kernelILi16ELi32Ei21rocsparse_complex_numIdEEEv21rocsparse_index_base_T1_S4_S4_PKT2_PKS4_PS5_l16rocsparse_order_.num_agpr, 0
	.set _ZN9rocsparseL16ell2dense_kernelILi16ELi32Ei21rocsparse_complex_numIdEEEv21rocsparse_index_base_T1_S4_S4_PKT2_PKS4_PS5_l16rocsparse_order_.numbered_sgpr, 20
	.set _ZN9rocsparseL16ell2dense_kernelILi16ELi32Ei21rocsparse_complex_numIdEEEv21rocsparse_index_base_T1_S4_S4_PKT2_PKS4_PS5_l16rocsparse_order_.num_named_barrier, 0
	.set _ZN9rocsparseL16ell2dense_kernelILi16ELi32Ei21rocsparse_complex_numIdEEEv21rocsparse_index_base_T1_S4_S4_PKT2_PKS4_PS5_l16rocsparse_order_.private_seg_size, 0
	.set _ZN9rocsparseL16ell2dense_kernelILi16ELi32Ei21rocsparse_complex_numIdEEEv21rocsparse_index_base_T1_S4_S4_PKT2_PKS4_PS5_l16rocsparse_order_.uses_vcc, 1
	.set _ZN9rocsparseL16ell2dense_kernelILi16ELi32Ei21rocsparse_complex_numIdEEEv21rocsparse_index_base_T1_S4_S4_PKT2_PKS4_PS5_l16rocsparse_order_.uses_flat_scratch, 0
	.set _ZN9rocsparseL16ell2dense_kernelILi16ELi32Ei21rocsparse_complex_numIdEEEv21rocsparse_index_base_T1_S4_S4_PKT2_PKS4_PS5_l16rocsparse_order_.has_dyn_sized_stack, 0
	.set _ZN9rocsparseL16ell2dense_kernelILi16ELi32Ei21rocsparse_complex_numIdEEEv21rocsparse_index_base_T1_S4_S4_PKT2_PKS4_PS5_l16rocsparse_order_.has_recursion, 0
	.set _ZN9rocsparseL16ell2dense_kernelILi16ELi32Ei21rocsparse_complex_numIdEEEv21rocsparse_index_base_T1_S4_S4_PKT2_PKS4_PS5_l16rocsparse_order_.has_indirect_call, 0
	.section	.AMDGPU.csdata,"",@progbits
; Kernel info:
; codeLenInByte = 340
; TotalNumSgprs: 24
; NumVgprs: 13
; ScratchSize: 0
; MemoryBound: 0
; FloatMode: 240
; IeeeMode: 1
; LDSByteSize: 0 bytes/workgroup (compile time only)
; SGPRBlocks: 2
; VGPRBlocks: 3
; NumSGPRsForWavesPerEU: 24
; NumVGPRsForWavesPerEU: 13
; Occupancy: 10
; WaveLimiterHint : 1
; COMPUTE_PGM_RSRC2:SCRATCH_EN: 0
; COMPUTE_PGM_RSRC2:USER_SGPR: 6
; COMPUTE_PGM_RSRC2:TRAP_HANDLER: 0
; COMPUTE_PGM_RSRC2:TGID_X_EN: 1
; COMPUTE_PGM_RSRC2:TGID_Y_EN: 0
; COMPUTE_PGM_RSRC2:TGID_Z_EN: 0
; COMPUTE_PGM_RSRC2:TIDIG_COMP_CNT: 0
	.section	.text._ZN9rocsparseL16ell2dense_kernelILi16ELi64Ei21rocsparse_complex_numIdEEEv21rocsparse_index_base_T1_S4_S4_PKT2_PKS4_PS5_l16rocsparse_order_,"axG",@progbits,_ZN9rocsparseL16ell2dense_kernelILi16ELi64Ei21rocsparse_complex_numIdEEEv21rocsparse_index_base_T1_S4_S4_PKT2_PKS4_PS5_l16rocsparse_order_,comdat
	.globl	_ZN9rocsparseL16ell2dense_kernelILi16ELi64Ei21rocsparse_complex_numIdEEEv21rocsparse_index_base_T1_S4_S4_PKT2_PKS4_PS5_l16rocsparse_order_ ; -- Begin function _ZN9rocsparseL16ell2dense_kernelILi16ELi64Ei21rocsparse_complex_numIdEEEv21rocsparse_index_base_T1_S4_S4_PKT2_PKS4_PS5_l16rocsparse_order_
	.p2align	8
	.type	_ZN9rocsparseL16ell2dense_kernelILi16ELi64Ei21rocsparse_complex_numIdEEEv21rocsparse_index_base_T1_S4_S4_PKT2_PKS4_PS5_l16rocsparse_order_,@function
_ZN9rocsparseL16ell2dense_kernelILi16ELi64Ei21rocsparse_complex_numIdEEEv21rocsparse_index_base_T1_S4_S4_PKT2_PKS4_PS5_l16rocsparse_order_: ; @_ZN9rocsparseL16ell2dense_kernelILi16ELi64Ei21rocsparse_complex_numIdEEEv21rocsparse_index_base_T1_S4_S4_PKT2_PKS4_PS5_l16rocsparse_order_
; %bb.0:
	s_load_dwordx4 s[16:19], s[4:5], 0x0
	v_lshrrev_b32_e32 v1, 6, v0
	v_lshl_or_b32 v1, s6, 4, v1
	s_waitcnt lgkmcnt(0)
	v_cmp_gt_u32_e32 vcc, s19, v1
	s_and_saveexec_b64 s[0:1], vcc
	s_cbranch_execz .LBB9_6
; %bb.1:
	v_and_b32_e32 v2, 63, v0
	v_cmp_gt_i32_e32 vcc, s17, v2
	s_and_b64 exec, exec, vcc
	s_cbranch_execz .LBB9_6
; %bb.2:
	s_load_dword s0, s[4:5], 0x30
	s_load_dwordx8 s[8:15], s[4:5], 0x10
	v_mul_lo_u32 v3, s17, v1
	s_mov_b64 s[4:5], 0
	v_mov_b32_e32 v1, 0
	s_waitcnt lgkmcnt(0)
	s_cmp_eq_u32 s0, 1
	s_cselect_b64 vcc, -1, 0
	v_mov_b32_e32 v4, s11
	s_branch .LBB9_4
.LBB9_3:                                ;   in Loop: Header=BB9_4 Depth=1
	s_or_b64 exec, exec, s[2:3]
	v_add_u32_e32 v2, 64, v2
	v_cmp_le_i32_e64 s[0:1], s17, v2
	s_or_b64 s[4:5], s[0:1], s[4:5]
	s_andn2_b64 exec, exec, s[4:5]
	s_cbranch_execz .LBB9_6
.LBB9_4:                                ; =>This Inner Loop Header: Depth=1
	v_add_u32_e32 v0, v3, v2
	v_lshlrev_b64 v[5:6], 2, v[0:1]
	v_add_co_u32_e64 v5, s[0:1], s10, v5
	v_addc_co_u32_e64 v6, s[0:1], v4, v6, s[0:1]
	global_load_dword v5, v[5:6], off
	s_waitcnt vmcnt(0)
	v_subrev_u32_e32 v5, s16, v5
	v_cmp_lt_i32_e64 s[0:1], -1, v5
	v_cmp_gt_i32_e64 s[2:3], s18, v5
	s_and_b64 s[0:1], s[0:1], s[2:3]
	s_and_saveexec_b64 s[2:3], s[0:1]
	s_cbranch_execz .LBB9_3
; %bb.5:                                ;   in Loop: Header=BB9_4 Depth=1
	v_lshlrev_b64 v[6:7], 4, v[0:1]
	v_mov_b32_e32 v0, s9
	v_add_co_u32_e64 v6, s[0:1], s8, v6
	v_addc_co_u32_e64 v7, s[0:1], v0, v7, s[0:1]
	global_load_dwordx4 v[6:9], v[6:7], off
	v_cndmask_b32_e32 v12, v2, v5, vcc
	v_mad_u64_u32 v[10:11], s[0:1], s14, v12, 0
	v_mov_b32_e32 v0, v11
	v_mad_u64_u32 v[11:12], s[0:1], s15, v12, v[0:1]
	v_cndmask_b32_e32 v0, v5, v2, vcc
	v_mov_b32_e32 v5, s13
	v_lshlrev_b64 v[10:11], 4, v[10:11]
	v_add_co_u32_e64 v12, s[0:1], s12, v10
	v_addc_co_u32_e64 v5, s[0:1], v5, v11, s[0:1]
	v_lshlrev_b64 v[10:11], 4, v[0:1]
	v_add_co_u32_e64 v10, s[0:1], v12, v10
	v_addc_co_u32_e64 v11, s[0:1], v5, v11, s[0:1]
	s_waitcnt vmcnt(0)
	global_store_dwordx4 v[10:11], v[6:9], off
	s_branch .LBB9_3
.LBB9_6:
	s_endpgm
	.section	.rodata,"a",@progbits
	.p2align	6, 0x0
	.amdhsa_kernel _ZN9rocsparseL16ell2dense_kernelILi16ELi64Ei21rocsparse_complex_numIdEEEv21rocsparse_index_base_T1_S4_S4_PKT2_PKS4_PS5_l16rocsparse_order_
		.amdhsa_group_segment_fixed_size 0
		.amdhsa_private_segment_fixed_size 0
		.amdhsa_kernarg_size 52
		.amdhsa_user_sgpr_count 6
		.amdhsa_user_sgpr_private_segment_buffer 1
		.amdhsa_user_sgpr_dispatch_ptr 0
		.amdhsa_user_sgpr_queue_ptr 0
		.amdhsa_user_sgpr_kernarg_segment_ptr 1
		.amdhsa_user_sgpr_dispatch_id 0
		.amdhsa_user_sgpr_flat_scratch_init 0
		.amdhsa_user_sgpr_private_segment_size 0
		.amdhsa_uses_dynamic_stack 0
		.amdhsa_system_sgpr_private_segment_wavefront_offset 0
		.amdhsa_system_sgpr_workgroup_id_x 1
		.amdhsa_system_sgpr_workgroup_id_y 0
		.amdhsa_system_sgpr_workgroup_id_z 0
		.amdhsa_system_sgpr_workgroup_info 0
		.amdhsa_system_vgpr_workitem_id 0
		.amdhsa_next_free_vgpr 13
		.amdhsa_next_free_sgpr 20
		.amdhsa_reserve_vcc 1
		.amdhsa_reserve_flat_scratch 0
		.amdhsa_float_round_mode_32 0
		.amdhsa_float_round_mode_16_64 0
		.amdhsa_float_denorm_mode_32 3
		.amdhsa_float_denorm_mode_16_64 3
		.amdhsa_dx10_clamp 1
		.amdhsa_ieee_mode 1
		.amdhsa_fp16_overflow 0
		.amdhsa_exception_fp_ieee_invalid_op 0
		.amdhsa_exception_fp_denorm_src 0
		.amdhsa_exception_fp_ieee_div_zero 0
		.amdhsa_exception_fp_ieee_overflow 0
		.amdhsa_exception_fp_ieee_underflow 0
		.amdhsa_exception_fp_ieee_inexact 0
		.amdhsa_exception_int_div_zero 0
	.end_amdhsa_kernel
	.section	.text._ZN9rocsparseL16ell2dense_kernelILi16ELi64Ei21rocsparse_complex_numIdEEEv21rocsparse_index_base_T1_S4_S4_PKT2_PKS4_PS5_l16rocsparse_order_,"axG",@progbits,_ZN9rocsparseL16ell2dense_kernelILi16ELi64Ei21rocsparse_complex_numIdEEEv21rocsparse_index_base_T1_S4_S4_PKT2_PKS4_PS5_l16rocsparse_order_,comdat
.Lfunc_end9:
	.size	_ZN9rocsparseL16ell2dense_kernelILi16ELi64Ei21rocsparse_complex_numIdEEEv21rocsparse_index_base_T1_S4_S4_PKT2_PKS4_PS5_l16rocsparse_order_, .Lfunc_end9-_ZN9rocsparseL16ell2dense_kernelILi16ELi64Ei21rocsparse_complex_numIdEEEv21rocsparse_index_base_T1_S4_S4_PKT2_PKS4_PS5_l16rocsparse_order_
                                        ; -- End function
	.set _ZN9rocsparseL16ell2dense_kernelILi16ELi64Ei21rocsparse_complex_numIdEEEv21rocsparse_index_base_T1_S4_S4_PKT2_PKS4_PS5_l16rocsparse_order_.num_vgpr, 13
	.set _ZN9rocsparseL16ell2dense_kernelILi16ELi64Ei21rocsparse_complex_numIdEEEv21rocsparse_index_base_T1_S4_S4_PKT2_PKS4_PS5_l16rocsparse_order_.num_agpr, 0
	.set _ZN9rocsparseL16ell2dense_kernelILi16ELi64Ei21rocsparse_complex_numIdEEEv21rocsparse_index_base_T1_S4_S4_PKT2_PKS4_PS5_l16rocsparse_order_.numbered_sgpr, 20
	.set _ZN9rocsparseL16ell2dense_kernelILi16ELi64Ei21rocsparse_complex_numIdEEEv21rocsparse_index_base_T1_S4_S4_PKT2_PKS4_PS5_l16rocsparse_order_.num_named_barrier, 0
	.set _ZN9rocsparseL16ell2dense_kernelILi16ELi64Ei21rocsparse_complex_numIdEEEv21rocsparse_index_base_T1_S4_S4_PKT2_PKS4_PS5_l16rocsparse_order_.private_seg_size, 0
	.set _ZN9rocsparseL16ell2dense_kernelILi16ELi64Ei21rocsparse_complex_numIdEEEv21rocsparse_index_base_T1_S4_S4_PKT2_PKS4_PS5_l16rocsparse_order_.uses_vcc, 1
	.set _ZN9rocsparseL16ell2dense_kernelILi16ELi64Ei21rocsparse_complex_numIdEEEv21rocsparse_index_base_T1_S4_S4_PKT2_PKS4_PS5_l16rocsparse_order_.uses_flat_scratch, 0
	.set _ZN9rocsparseL16ell2dense_kernelILi16ELi64Ei21rocsparse_complex_numIdEEEv21rocsparse_index_base_T1_S4_S4_PKT2_PKS4_PS5_l16rocsparse_order_.has_dyn_sized_stack, 0
	.set _ZN9rocsparseL16ell2dense_kernelILi16ELi64Ei21rocsparse_complex_numIdEEEv21rocsparse_index_base_T1_S4_S4_PKT2_PKS4_PS5_l16rocsparse_order_.has_recursion, 0
	.set _ZN9rocsparseL16ell2dense_kernelILi16ELi64Ei21rocsparse_complex_numIdEEEv21rocsparse_index_base_T1_S4_S4_PKT2_PKS4_PS5_l16rocsparse_order_.has_indirect_call, 0
	.section	.AMDGPU.csdata,"",@progbits
; Kernel info:
; codeLenInByte = 340
; TotalNumSgprs: 24
; NumVgprs: 13
; ScratchSize: 0
; MemoryBound: 0
; FloatMode: 240
; IeeeMode: 1
; LDSByteSize: 0 bytes/workgroup (compile time only)
; SGPRBlocks: 2
; VGPRBlocks: 3
; NumSGPRsForWavesPerEU: 24
; NumVGPRsForWavesPerEU: 13
; Occupancy: 10
; WaveLimiterHint : 1
; COMPUTE_PGM_RSRC2:SCRATCH_EN: 0
; COMPUTE_PGM_RSRC2:USER_SGPR: 6
; COMPUTE_PGM_RSRC2:TRAP_HANDLER: 0
; COMPUTE_PGM_RSRC2:TGID_X_EN: 1
; COMPUTE_PGM_RSRC2:TGID_Y_EN: 0
; COMPUTE_PGM_RSRC2:TGID_Z_EN: 0
; COMPUTE_PGM_RSRC2:TIDIG_COMP_CNT: 0
	.section	.text._ZN9rocsparseL16ell2dense_kernelILi16ELi32ElDF16_EEv21rocsparse_index_base_T1_S2_S2_PKT2_PKS2_PS3_l16rocsparse_order_,"axG",@progbits,_ZN9rocsparseL16ell2dense_kernelILi16ELi32ElDF16_EEv21rocsparse_index_base_T1_S2_S2_PKT2_PKS2_PS3_l16rocsparse_order_,comdat
	.globl	_ZN9rocsparseL16ell2dense_kernelILi16ELi32ElDF16_EEv21rocsparse_index_base_T1_S2_S2_PKT2_PKS2_PS3_l16rocsparse_order_ ; -- Begin function _ZN9rocsparseL16ell2dense_kernelILi16ELi32ElDF16_EEv21rocsparse_index_base_T1_S2_S2_PKT2_PKS2_PS3_l16rocsparse_order_
	.p2align	8
	.type	_ZN9rocsparseL16ell2dense_kernelILi16ELi32ElDF16_EEv21rocsparse_index_base_T1_S2_S2_PKT2_PKS2_PS3_l16rocsparse_order_,@function
_ZN9rocsparseL16ell2dense_kernelILi16ELi32ElDF16_EEv21rocsparse_index_base_T1_S2_S2_PKT2_PKS2_PS3_l16rocsparse_order_: ; @_ZN9rocsparseL16ell2dense_kernelILi16ELi32ElDF16_EEv21rocsparse_index_base_T1_S2_S2_PKT2_PKS2_PS3_l16rocsparse_order_
; %bb.0:
	s_load_dwordx2 s[0:1], s[4:5], 0x18
	v_lshrrev_b32_e32 v1, 5, v0
	v_lshl_or_b32 v2, s6, 4, v1
	v_mov_b32_e32 v1, 0
	v_mov_b32_e32 v3, v1
	s_waitcnt lgkmcnt(0)
	v_cmp_gt_i64_e32 vcc, s[0:1], v[2:3]
	s_and_saveexec_b64 s[0:1], vcc
	s_cbranch_execz .LBB10_6
; %bb.1:
	s_load_dwordx4 s[16:19], s[4:5], 0x8
	v_and_b32_e32 v0, 31, v0
	s_waitcnt lgkmcnt(0)
	v_cmp_gt_i64_e32 vcc, s[16:17], v[0:1]
	s_and_b64 exec, exec, vcc
	s_cbranch_execz .LBB10_6
; %bb.2:
	v_mad_u64_u32 v[4:5], s[0:1], s16, v2, v[0:1]
	s_load_dwordx8 s[8:15], s[4:5], 0x20
	s_load_dword s2, s[4:5], 0x40
	s_load_dword s6, s[4:5], 0x0
	v_mov_b32_e32 v3, v5
	v_mad_u64_u32 v[2:3], s[0:1], s17, v2, v[3:4]
	s_waitcnt lgkmcnt(0)
	v_mov_b32_e32 v6, s11
	s_cmp_eq_u32 s2, 1
	v_mov_b32_e32 v5, v2
	v_lshlrev_b64 v[2:3], 3, v[4:5]
	v_lshlrev_b64 v[4:5], 1, v[4:5]
	v_add_co_u32_e32 v2, vcc, s10, v2
	v_addc_co_u32_e32 v3, vcc, v6, v3, vcc
	v_mov_b32_e32 v6, s9
	v_add_co_u32_e32 v4, vcc, s8, v4
	s_cselect_b64 s[0:1], -1, 0
	v_addc_co_u32_e32 v5, vcc, v6, v5, vcc
	s_mov_b64 s[4:5], 0
	s_branch .LBB10_4
.LBB10_3:                               ;   in Loop: Header=BB10_4 Depth=1
	s_or_b64 exec, exec, s[2:3]
	v_add_co_u32_e32 v0, vcc, 32, v0
	v_addc_co_u32_e32 v1, vcc, 0, v1, vcc
	v_add_co_u32_e32 v2, vcc, 0x100, v2
	v_cmp_le_i64_e64 s[2:3], s[16:17], v[0:1]
	v_addc_co_u32_e32 v3, vcc, 0, v3, vcc
	v_add_co_u32_e32 v4, vcc, 64, v4
	s_or_b64 s[4:5], s[2:3], s[4:5]
	v_addc_co_u32_e32 v5, vcc, 0, v5, vcc
	s_andn2_b64 exec, exec, s[4:5]
	s_cbranch_execz .LBB10_6
.LBB10_4:                               ; =>This Inner Loop Header: Depth=1
	global_load_dwordx2 v[6:7], v[2:3], off
	s_waitcnt vmcnt(0)
	v_subrev_co_u32_e32 v6, vcc, s6, v6
	v_subbrev_co_u32_e32 v7, vcc, 0, v7, vcc
	v_cmp_lt_i64_e32 vcc, -1, v[6:7]
	v_cmp_gt_i64_e64 s[2:3], s[18:19], v[6:7]
	s_and_b64 s[8:9], vcc, s[2:3]
	s_and_saveexec_b64 s[2:3], s[8:9]
	s_cbranch_execz .LBB10_3
; %bb.5:                                ;   in Loop: Header=BB10_4 Depth=1
	global_load_ushort v10, v[4:5], off
	v_cndmask_b32_e64 v8, v0, v6, s[0:1]
	v_cndmask_b32_e64 v9, v1, v7, s[0:1]
	v_mul_lo_u32 v11, v9, s14
	v_mul_lo_u32 v12, v8, s15
	v_mad_u64_u32 v[8:9], s[8:9], v8, s14, 0
	v_cndmask_b32_e64 v7, v7, v1, s[0:1]
	v_cndmask_b32_e64 v6, v6, v0, s[0:1]
	v_add3_u32 v9, v9, v12, v11
	v_lshlrev_b64 v[8:9], 1, v[8:9]
	v_mov_b32_e32 v11, s13
	v_add_co_u32_e32 v8, vcc, s12, v8
	v_lshlrev_b64 v[6:7], 1, v[6:7]
	v_addc_co_u32_e32 v9, vcc, v11, v9, vcc
	v_add_co_u32_e32 v6, vcc, v8, v6
	v_addc_co_u32_e32 v7, vcc, v9, v7, vcc
	s_waitcnt vmcnt(0)
	global_store_short v[6:7], v10, off
	s_branch .LBB10_3
.LBB10_6:
	s_endpgm
	.section	.rodata,"a",@progbits
	.p2align	6, 0x0
	.amdhsa_kernel _ZN9rocsparseL16ell2dense_kernelILi16ELi32ElDF16_EEv21rocsparse_index_base_T1_S2_S2_PKT2_PKS2_PS3_l16rocsparse_order_
		.amdhsa_group_segment_fixed_size 0
		.amdhsa_private_segment_fixed_size 0
		.amdhsa_kernarg_size 68
		.amdhsa_user_sgpr_count 6
		.amdhsa_user_sgpr_private_segment_buffer 1
		.amdhsa_user_sgpr_dispatch_ptr 0
		.amdhsa_user_sgpr_queue_ptr 0
		.amdhsa_user_sgpr_kernarg_segment_ptr 1
		.amdhsa_user_sgpr_dispatch_id 0
		.amdhsa_user_sgpr_flat_scratch_init 0
		.amdhsa_user_sgpr_private_segment_size 0
		.amdhsa_uses_dynamic_stack 0
		.amdhsa_system_sgpr_private_segment_wavefront_offset 0
		.amdhsa_system_sgpr_workgroup_id_x 1
		.amdhsa_system_sgpr_workgroup_id_y 0
		.amdhsa_system_sgpr_workgroup_id_z 0
		.amdhsa_system_sgpr_workgroup_info 0
		.amdhsa_system_vgpr_workitem_id 0
		.amdhsa_next_free_vgpr 13
		.amdhsa_next_free_sgpr 20
		.amdhsa_reserve_vcc 1
		.amdhsa_reserve_flat_scratch 0
		.amdhsa_float_round_mode_32 0
		.amdhsa_float_round_mode_16_64 0
		.amdhsa_float_denorm_mode_32 3
		.amdhsa_float_denorm_mode_16_64 3
		.amdhsa_dx10_clamp 1
		.amdhsa_ieee_mode 1
		.amdhsa_fp16_overflow 0
		.amdhsa_exception_fp_ieee_invalid_op 0
		.amdhsa_exception_fp_denorm_src 0
		.amdhsa_exception_fp_ieee_div_zero 0
		.amdhsa_exception_fp_ieee_overflow 0
		.amdhsa_exception_fp_ieee_underflow 0
		.amdhsa_exception_fp_ieee_inexact 0
		.amdhsa_exception_int_div_zero 0
	.end_amdhsa_kernel
	.section	.text._ZN9rocsparseL16ell2dense_kernelILi16ELi32ElDF16_EEv21rocsparse_index_base_T1_S2_S2_PKT2_PKS2_PS3_l16rocsparse_order_,"axG",@progbits,_ZN9rocsparseL16ell2dense_kernelILi16ELi32ElDF16_EEv21rocsparse_index_base_T1_S2_S2_PKT2_PKS2_PS3_l16rocsparse_order_,comdat
.Lfunc_end10:
	.size	_ZN9rocsparseL16ell2dense_kernelILi16ELi32ElDF16_EEv21rocsparse_index_base_T1_S2_S2_PKT2_PKS2_PS3_l16rocsparse_order_, .Lfunc_end10-_ZN9rocsparseL16ell2dense_kernelILi16ELi32ElDF16_EEv21rocsparse_index_base_T1_S2_S2_PKT2_PKS2_PS3_l16rocsparse_order_
                                        ; -- End function
	.set _ZN9rocsparseL16ell2dense_kernelILi16ELi32ElDF16_EEv21rocsparse_index_base_T1_S2_S2_PKT2_PKS2_PS3_l16rocsparse_order_.num_vgpr, 13
	.set _ZN9rocsparseL16ell2dense_kernelILi16ELi32ElDF16_EEv21rocsparse_index_base_T1_S2_S2_PKT2_PKS2_PS3_l16rocsparse_order_.num_agpr, 0
	.set _ZN9rocsparseL16ell2dense_kernelILi16ELi32ElDF16_EEv21rocsparse_index_base_T1_S2_S2_PKT2_PKS2_PS3_l16rocsparse_order_.numbered_sgpr, 20
	.set _ZN9rocsparseL16ell2dense_kernelILi16ELi32ElDF16_EEv21rocsparse_index_base_T1_S2_S2_PKT2_PKS2_PS3_l16rocsparse_order_.num_named_barrier, 0
	.set _ZN9rocsparseL16ell2dense_kernelILi16ELi32ElDF16_EEv21rocsparse_index_base_T1_S2_S2_PKT2_PKS2_PS3_l16rocsparse_order_.private_seg_size, 0
	.set _ZN9rocsparseL16ell2dense_kernelILi16ELi32ElDF16_EEv21rocsparse_index_base_T1_S2_S2_PKT2_PKS2_PS3_l16rocsparse_order_.uses_vcc, 1
	.set _ZN9rocsparseL16ell2dense_kernelILi16ELi32ElDF16_EEv21rocsparse_index_base_T1_S2_S2_PKT2_PKS2_PS3_l16rocsparse_order_.uses_flat_scratch, 0
	.set _ZN9rocsparseL16ell2dense_kernelILi16ELi32ElDF16_EEv21rocsparse_index_base_T1_S2_S2_PKT2_PKS2_PS3_l16rocsparse_order_.has_dyn_sized_stack, 0
	.set _ZN9rocsparseL16ell2dense_kernelILi16ELi32ElDF16_EEv21rocsparse_index_base_T1_S2_S2_PKT2_PKS2_PS3_l16rocsparse_order_.has_recursion, 0
	.set _ZN9rocsparseL16ell2dense_kernelILi16ELi32ElDF16_EEv21rocsparse_index_base_T1_S2_S2_PKT2_PKS2_PS3_l16rocsparse_order_.has_indirect_call, 0
	.section	.AMDGPU.csdata,"",@progbits
; Kernel info:
; codeLenInByte = 404
; TotalNumSgprs: 24
; NumVgprs: 13
; ScratchSize: 0
; MemoryBound: 0
; FloatMode: 240
; IeeeMode: 1
; LDSByteSize: 0 bytes/workgroup (compile time only)
; SGPRBlocks: 2
; VGPRBlocks: 3
; NumSGPRsForWavesPerEU: 24
; NumVGPRsForWavesPerEU: 13
; Occupancy: 10
; WaveLimiterHint : 1
; COMPUTE_PGM_RSRC2:SCRATCH_EN: 0
; COMPUTE_PGM_RSRC2:USER_SGPR: 6
; COMPUTE_PGM_RSRC2:TRAP_HANDLER: 0
; COMPUTE_PGM_RSRC2:TGID_X_EN: 1
; COMPUTE_PGM_RSRC2:TGID_Y_EN: 0
; COMPUTE_PGM_RSRC2:TGID_Z_EN: 0
; COMPUTE_PGM_RSRC2:TIDIG_COMP_CNT: 0
	.section	.text._ZN9rocsparseL16ell2dense_kernelILi16ELi64ElDF16_EEv21rocsparse_index_base_T1_S2_S2_PKT2_PKS2_PS3_l16rocsparse_order_,"axG",@progbits,_ZN9rocsparseL16ell2dense_kernelILi16ELi64ElDF16_EEv21rocsparse_index_base_T1_S2_S2_PKT2_PKS2_PS3_l16rocsparse_order_,comdat
	.globl	_ZN9rocsparseL16ell2dense_kernelILi16ELi64ElDF16_EEv21rocsparse_index_base_T1_S2_S2_PKT2_PKS2_PS3_l16rocsparse_order_ ; -- Begin function _ZN9rocsparseL16ell2dense_kernelILi16ELi64ElDF16_EEv21rocsparse_index_base_T1_S2_S2_PKT2_PKS2_PS3_l16rocsparse_order_
	.p2align	8
	.type	_ZN9rocsparseL16ell2dense_kernelILi16ELi64ElDF16_EEv21rocsparse_index_base_T1_S2_S2_PKT2_PKS2_PS3_l16rocsparse_order_,@function
_ZN9rocsparseL16ell2dense_kernelILi16ELi64ElDF16_EEv21rocsparse_index_base_T1_S2_S2_PKT2_PKS2_PS3_l16rocsparse_order_: ; @_ZN9rocsparseL16ell2dense_kernelILi16ELi64ElDF16_EEv21rocsparse_index_base_T1_S2_S2_PKT2_PKS2_PS3_l16rocsparse_order_
; %bb.0:
	s_load_dwordx2 s[0:1], s[4:5], 0x18
	v_lshrrev_b32_e32 v1, 6, v0
	v_lshl_or_b32 v2, s6, 4, v1
	v_mov_b32_e32 v1, 0
	v_mov_b32_e32 v3, v1
	s_waitcnt lgkmcnt(0)
	v_cmp_gt_i64_e32 vcc, s[0:1], v[2:3]
	s_and_saveexec_b64 s[0:1], vcc
	s_cbranch_execz .LBB11_6
; %bb.1:
	s_load_dwordx4 s[16:19], s[4:5], 0x8
	v_and_b32_e32 v0, 63, v0
	s_waitcnt lgkmcnt(0)
	v_cmp_gt_i64_e32 vcc, s[16:17], v[0:1]
	s_and_b64 exec, exec, vcc
	s_cbranch_execz .LBB11_6
; %bb.2:
	v_mad_u64_u32 v[4:5], s[0:1], s16, v2, v[0:1]
	s_load_dwordx8 s[8:15], s[4:5], 0x20
	s_load_dword s2, s[4:5], 0x40
	s_load_dword s6, s[4:5], 0x0
	v_mov_b32_e32 v3, v5
	v_mad_u64_u32 v[2:3], s[0:1], s17, v2, v[3:4]
	s_waitcnt lgkmcnt(0)
	v_mov_b32_e32 v6, s11
	s_cmp_eq_u32 s2, 1
	v_mov_b32_e32 v5, v2
	v_lshlrev_b64 v[2:3], 3, v[4:5]
	v_lshlrev_b64 v[4:5], 1, v[4:5]
	v_add_co_u32_e32 v2, vcc, s10, v2
	v_addc_co_u32_e32 v3, vcc, v6, v3, vcc
	v_mov_b32_e32 v6, s9
	v_add_co_u32_e32 v4, vcc, s8, v4
	s_cselect_b64 s[0:1], -1, 0
	v_addc_co_u32_e32 v5, vcc, v6, v5, vcc
	s_mov_b64 s[4:5], 0
	s_branch .LBB11_4
.LBB11_3:                               ;   in Loop: Header=BB11_4 Depth=1
	s_or_b64 exec, exec, s[2:3]
	v_add_co_u32_e32 v0, vcc, 64, v0
	v_addc_co_u32_e32 v1, vcc, 0, v1, vcc
	v_add_co_u32_e32 v2, vcc, 0x200, v2
	v_addc_co_u32_e32 v3, vcc, 0, v3, vcc
	v_cmp_le_i64_e64 s[2:3], s[16:17], v[0:1]
	v_add_co_u32_e32 v4, vcc, 0x80, v4
	s_or_b64 s[4:5], s[2:3], s[4:5]
	v_addc_co_u32_e32 v5, vcc, 0, v5, vcc
	s_andn2_b64 exec, exec, s[4:5]
	s_cbranch_execz .LBB11_6
.LBB11_4:                               ; =>This Inner Loop Header: Depth=1
	global_load_dwordx2 v[6:7], v[2:3], off
	s_waitcnt vmcnt(0)
	v_subrev_co_u32_e32 v6, vcc, s6, v6
	v_subbrev_co_u32_e32 v7, vcc, 0, v7, vcc
	v_cmp_lt_i64_e32 vcc, -1, v[6:7]
	v_cmp_gt_i64_e64 s[2:3], s[18:19], v[6:7]
	s_and_b64 s[8:9], vcc, s[2:3]
	s_and_saveexec_b64 s[2:3], s[8:9]
	s_cbranch_execz .LBB11_3
; %bb.5:                                ;   in Loop: Header=BB11_4 Depth=1
	global_load_ushort v10, v[4:5], off
	v_cndmask_b32_e64 v8, v0, v6, s[0:1]
	v_cndmask_b32_e64 v9, v1, v7, s[0:1]
	v_mul_lo_u32 v11, v9, s14
	v_mul_lo_u32 v12, v8, s15
	v_mad_u64_u32 v[8:9], s[8:9], v8, s14, 0
	v_cndmask_b32_e64 v7, v7, v1, s[0:1]
	v_cndmask_b32_e64 v6, v6, v0, s[0:1]
	v_add3_u32 v9, v9, v12, v11
	v_lshlrev_b64 v[8:9], 1, v[8:9]
	v_mov_b32_e32 v11, s13
	v_add_co_u32_e32 v8, vcc, s12, v8
	v_lshlrev_b64 v[6:7], 1, v[6:7]
	v_addc_co_u32_e32 v9, vcc, v11, v9, vcc
	v_add_co_u32_e32 v6, vcc, v8, v6
	v_addc_co_u32_e32 v7, vcc, v9, v7, vcc
	s_waitcnt vmcnt(0)
	global_store_short v[6:7], v10, off
	s_branch .LBB11_3
.LBB11_6:
	s_endpgm
	.section	.rodata,"a",@progbits
	.p2align	6, 0x0
	.amdhsa_kernel _ZN9rocsparseL16ell2dense_kernelILi16ELi64ElDF16_EEv21rocsparse_index_base_T1_S2_S2_PKT2_PKS2_PS3_l16rocsparse_order_
		.amdhsa_group_segment_fixed_size 0
		.amdhsa_private_segment_fixed_size 0
		.amdhsa_kernarg_size 68
		.amdhsa_user_sgpr_count 6
		.amdhsa_user_sgpr_private_segment_buffer 1
		.amdhsa_user_sgpr_dispatch_ptr 0
		.amdhsa_user_sgpr_queue_ptr 0
		.amdhsa_user_sgpr_kernarg_segment_ptr 1
		.amdhsa_user_sgpr_dispatch_id 0
		.amdhsa_user_sgpr_flat_scratch_init 0
		.amdhsa_user_sgpr_private_segment_size 0
		.amdhsa_uses_dynamic_stack 0
		.amdhsa_system_sgpr_private_segment_wavefront_offset 0
		.amdhsa_system_sgpr_workgroup_id_x 1
		.amdhsa_system_sgpr_workgroup_id_y 0
		.amdhsa_system_sgpr_workgroup_id_z 0
		.amdhsa_system_sgpr_workgroup_info 0
		.amdhsa_system_vgpr_workitem_id 0
		.amdhsa_next_free_vgpr 13
		.amdhsa_next_free_sgpr 20
		.amdhsa_reserve_vcc 1
		.amdhsa_reserve_flat_scratch 0
		.amdhsa_float_round_mode_32 0
		.amdhsa_float_round_mode_16_64 0
		.amdhsa_float_denorm_mode_32 3
		.amdhsa_float_denorm_mode_16_64 3
		.amdhsa_dx10_clamp 1
		.amdhsa_ieee_mode 1
		.amdhsa_fp16_overflow 0
		.amdhsa_exception_fp_ieee_invalid_op 0
		.amdhsa_exception_fp_denorm_src 0
		.amdhsa_exception_fp_ieee_div_zero 0
		.amdhsa_exception_fp_ieee_overflow 0
		.amdhsa_exception_fp_ieee_underflow 0
		.amdhsa_exception_fp_ieee_inexact 0
		.amdhsa_exception_int_div_zero 0
	.end_amdhsa_kernel
	.section	.text._ZN9rocsparseL16ell2dense_kernelILi16ELi64ElDF16_EEv21rocsparse_index_base_T1_S2_S2_PKT2_PKS2_PS3_l16rocsparse_order_,"axG",@progbits,_ZN9rocsparseL16ell2dense_kernelILi16ELi64ElDF16_EEv21rocsparse_index_base_T1_S2_S2_PKT2_PKS2_PS3_l16rocsparse_order_,comdat
.Lfunc_end11:
	.size	_ZN9rocsparseL16ell2dense_kernelILi16ELi64ElDF16_EEv21rocsparse_index_base_T1_S2_S2_PKT2_PKS2_PS3_l16rocsparse_order_, .Lfunc_end11-_ZN9rocsparseL16ell2dense_kernelILi16ELi64ElDF16_EEv21rocsparse_index_base_T1_S2_S2_PKT2_PKS2_PS3_l16rocsparse_order_
                                        ; -- End function
	.set _ZN9rocsparseL16ell2dense_kernelILi16ELi64ElDF16_EEv21rocsparse_index_base_T1_S2_S2_PKT2_PKS2_PS3_l16rocsparse_order_.num_vgpr, 13
	.set _ZN9rocsparseL16ell2dense_kernelILi16ELi64ElDF16_EEv21rocsparse_index_base_T1_S2_S2_PKT2_PKS2_PS3_l16rocsparse_order_.num_agpr, 0
	.set _ZN9rocsparseL16ell2dense_kernelILi16ELi64ElDF16_EEv21rocsparse_index_base_T1_S2_S2_PKT2_PKS2_PS3_l16rocsparse_order_.numbered_sgpr, 20
	.set _ZN9rocsparseL16ell2dense_kernelILi16ELi64ElDF16_EEv21rocsparse_index_base_T1_S2_S2_PKT2_PKS2_PS3_l16rocsparse_order_.num_named_barrier, 0
	.set _ZN9rocsparseL16ell2dense_kernelILi16ELi64ElDF16_EEv21rocsparse_index_base_T1_S2_S2_PKT2_PKS2_PS3_l16rocsparse_order_.private_seg_size, 0
	.set _ZN9rocsparseL16ell2dense_kernelILi16ELi64ElDF16_EEv21rocsparse_index_base_T1_S2_S2_PKT2_PKS2_PS3_l16rocsparse_order_.uses_vcc, 1
	.set _ZN9rocsparseL16ell2dense_kernelILi16ELi64ElDF16_EEv21rocsparse_index_base_T1_S2_S2_PKT2_PKS2_PS3_l16rocsparse_order_.uses_flat_scratch, 0
	.set _ZN9rocsparseL16ell2dense_kernelILi16ELi64ElDF16_EEv21rocsparse_index_base_T1_S2_S2_PKT2_PKS2_PS3_l16rocsparse_order_.has_dyn_sized_stack, 0
	.set _ZN9rocsparseL16ell2dense_kernelILi16ELi64ElDF16_EEv21rocsparse_index_base_T1_S2_S2_PKT2_PKS2_PS3_l16rocsparse_order_.has_recursion, 0
	.set _ZN9rocsparseL16ell2dense_kernelILi16ELi64ElDF16_EEv21rocsparse_index_base_T1_S2_S2_PKT2_PKS2_PS3_l16rocsparse_order_.has_indirect_call, 0
	.section	.AMDGPU.csdata,"",@progbits
; Kernel info:
; codeLenInByte = 408
; TotalNumSgprs: 24
; NumVgprs: 13
; ScratchSize: 0
; MemoryBound: 0
; FloatMode: 240
; IeeeMode: 1
; LDSByteSize: 0 bytes/workgroup (compile time only)
; SGPRBlocks: 2
; VGPRBlocks: 3
; NumSGPRsForWavesPerEU: 24
; NumVGPRsForWavesPerEU: 13
; Occupancy: 10
; WaveLimiterHint : 1
; COMPUTE_PGM_RSRC2:SCRATCH_EN: 0
; COMPUTE_PGM_RSRC2:USER_SGPR: 6
; COMPUTE_PGM_RSRC2:TRAP_HANDLER: 0
; COMPUTE_PGM_RSRC2:TGID_X_EN: 1
; COMPUTE_PGM_RSRC2:TGID_Y_EN: 0
; COMPUTE_PGM_RSRC2:TGID_Z_EN: 0
; COMPUTE_PGM_RSRC2:TIDIG_COMP_CNT: 0
	.section	.text._ZN9rocsparseL16ell2dense_kernelILi16ELi32ElfEEv21rocsparse_index_base_T1_S2_S2_PKT2_PKS2_PS3_l16rocsparse_order_,"axG",@progbits,_ZN9rocsparseL16ell2dense_kernelILi16ELi32ElfEEv21rocsparse_index_base_T1_S2_S2_PKT2_PKS2_PS3_l16rocsparse_order_,comdat
	.globl	_ZN9rocsparseL16ell2dense_kernelILi16ELi32ElfEEv21rocsparse_index_base_T1_S2_S2_PKT2_PKS2_PS3_l16rocsparse_order_ ; -- Begin function _ZN9rocsparseL16ell2dense_kernelILi16ELi32ElfEEv21rocsparse_index_base_T1_S2_S2_PKT2_PKS2_PS3_l16rocsparse_order_
	.p2align	8
	.type	_ZN9rocsparseL16ell2dense_kernelILi16ELi32ElfEEv21rocsparse_index_base_T1_S2_S2_PKT2_PKS2_PS3_l16rocsparse_order_,@function
_ZN9rocsparseL16ell2dense_kernelILi16ELi32ElfEEv21rocsparse_index_base_T1_S2_S2_PKT2_PKS2_PS3_l16rocsparse_order_: ; @_ZN9rocsparseL16ell2dense_kernelILi16ELi32ElfEEv21rocsparse_index_base_T1_S2_S2_PKT2_PKS2_PS3_l16rocsparse_order_
; %bb.0:
	s_load_dwordx2 s[0:1], s[4:5], 0x18
	v_lshrrev_b32_e32 v1, 5, v0
	v_lshl_or_b32 v2, s6, 4, v1
	v_mov_b32_e32 v1, 0
	v_mov_b32_e32 v3, v1
	s_waitcnt lgkmcnt(0)
	v_cmp_gt_i64_e32 vcc, s[0:1], v[2:3]
	s_and_saveexec_b64 s[0:1], vcc
	s_cbranch_execz .LBB12_6
; %bb.1:
	s_load_dwordx4 s[16:19], s[4:5], 0x8
	v_and_b32_e32 v0, 31, v0
	s_waitcnt lgkmcnt(0)
	v_cmp_gt_i64_e32 vcc, s[16:17], v[0:1]
	s_and_b64 exec, exec, vcc
	s_cbranch_execz .LBB12_6
; %bb.2:
	v_mad_u64_u32 v[4:5], s[0:1], s16, v2, v[0:1]
	s_load_dwordx8 s[8:15], s[4:5], 0x20
	s_load_dword s2, s[4:5], 0x40
	s_load_dword s6, s[4:5], 0x0
	v_mov_b32_e32 v3, v5
	v_mad_u64_u32 v[2:3], s[0:1], s17, v2, v[3:4]
	s_waitcnt lgkmcnt(0)
	v_mov_b32_e32 v6, s11
	s_cmp_eq_u32 s2, 1
	v_mov_b32_e32 v5, v2
	v_lshlrev_b64 v[2:3], 3, v[4:5]
	v_lshlrev_b64 v[4:5], 2, v[4:5]
	v_add_co_u32_e32 v2, vcc, s10, v2
	v_addc_co_u32_e32 v3, vcc, v6, v3, vcc
	v_mov_b32_e32 v6, s9
	v_add_co_u32_e32 v4, vcc, s8, v4
	s_cselect_b64 s[0:1], -1, 0
	v_addc_co_u32_e32 v5, vcc, v6, v5, vcc
	s_mov_b64 s[4:5], 0
	s_branch .LBB12_4
.LBB12_3:                               ;   in Loop: Header=BB12_4 Depth=1
	s_or_b64 exec, exec, s[2:3]
	v_add_co_u32_e32 v0, vcc, 32, v0
	v_addc_co_u32_e32 v1, vcc, 0, v1, vcc
	v_add_co_u32_e32 v2, vcc, 0x100, v2
	v_addc_co_u32_e32 v3, vcc, 0, v3, vcc
	v_cmp_le_i64_e64 s[2:3], s[16:17], v[0:1]
	v_add_co_u32_e32 v4, vcc, 0x80, v4
	s_or_b64 s[4:5], s[2:3], s[4:5]
	v_addc_co_u32_e32 v5, vcc, 0, v5, vcc
	s_andn2_b64 exec, exec, s[4:5]
	s_cbranch_execz .LBB12_6
.LBB12_4:                               ; =>This Inner Loop Header: Depth=1
	global_load_dwordx2 v[6:7], v[2:3], off
	s_waitcnt vmcnt(0)
	v_subrev_co_u32_e32 v6, vcc, s6, v6
	v_subbrev_co_u32_e32 v7, vcc, 0, v7, vcc
	v_cmp_lt_i64_e32 vcc, -1, v[6:7]
	v_cmp_gt_i64_e64 s[2:3], s[18:19], v[6:7]
	s_and_b64 s[8:9], vcc, s[2:3]
	s_and_saveexec_b64 s[2:3], s[8:9]
	s_cbranch_execz .LBB12_3
; %bb.5:                                ;   in Loop: Header=BB12_4 Depth=1
	global_load_dword v10, v[4:5], off
	v_cndmask_b32_e64 v8, v0, v6, s[0:1]
	v_cndmask_b32_e64 v9, v1, v7, s[0:1]
	v_mul_lo_u32 v11, v9, s14
	v_mul_lo_u32 v12, v8, s15
	v_mad_u64_u32 v[8:9], s[8:9], v8, s14, 0
	v_cndmask_b32_e64 v7, v7, v1, s[0:1]
	v_cndmask_b32_e64 v6, v6, v0, s[0:1]
	v_add3_u32 v9, v9, v12, v11
	v_lshlrev_b64 v[8:9], 2, v[8:9]
	v_mov_b32_e32 v11, s13
	v_add_co_u32_e32 v8, vcc, s12, v8
	v_lshlrev_b64 v[6:7], 2, v[6:7]
	v_addc_co_u32_e32 v9, vcc, v11, v9, vcc
	v_add_co_u32_e32 v6, vcc, v8, v6
	v_addc_co_u32_e32 v7, vcc, v9, v7, vcc
	s_waitcnt vmcnt(0)
	global_store_dword v[6:7], v10, off
	s_branch .LBB12_3
.LBB12_6:
	s_endpgm
	.section	.rodata,"a",@progbits
	.p2align	6, 0x0
	.amdhsa_kernel _ZN9rocsparseL16ell2dense_kernelILi16ELi32ElfEEv21rocsparse_index_base_T1_S2_S2_PKT2_PKS2_PS3_l16rocsparse_order_
		.amdhsa_group_segment_fixed_size 0
		.amdhsa_private_segment_fixed_size 0
		.amdhsa_kernarg_size 68
		.amdhsa_user_sgpr_count 6
		.amdhsa_user_sgpr_private_segment_buffer 1
		.amdhsa_user_sgpr_dispatch_ptr 0
		.amdhsa_user_sgpr_queue_ptr 0
		.amdhsa_user_sgpr_kernarg_segment_ptr 1
		.amdhsa_user_sgpr_dispatch_id 0
		.amdhsa_user_sgpr_flat_scratch_init 0
		.amdhsa_user_sgpr_private_segment_size 0
		.amdhsa_uses_dynamic_stack 0
		.amdhsa_system_sgpr_private_segment_wavefront_offset 0
		.amdhsa_system_sgpr_workgroup_id_x 1
		.amdhsa_system_sgpr_workgroup_id_y 0
		.amdhsa_system_sgpr_workgroup_id_z 0
		.amdhsa_system_sgpr_workgroup_info 0
		.amdhsa_system_vgpr_workitem_id 0
		.amdhsa_next_free_vgpr 13
		.amdhsa_next_free_sgpr 20
		.amdhsa_reserve_vcc 1
		.amdhsa_reserve_flat_scratch 0
		.amdhsa_float_round_mode_32 0
		.amdhsa_float_round_mode_16_64 0
		.amdhsa_float_denorm_mode_32 3
		.amdhsa_float_denorm_mode_16_64 3
		.amdhsa_dx10_clamp 1
		.amdhsa_ieee_mode 1
		.amdhsa_fp16_overflow 0
		.amdhsa_exception_fp_ieee_invalid_op 0
		.amdhsa_exception_fp_denorm_src 0
		.amdhsa_exception_fp_ieee_div_zero 0
		.amdhsa_exception_fp_ieee_overflow 0
		.amdhsa_exception_fp_ieee_underflow 0
		.amdhsa_exception_fp_ieee_inexact 0
		.amdhsa_exception_int_div_zero 0
	.end_amdhsa_kernel
	.section	.text._ZN9rocsparseL16ell2dense_kernelILi16ELi32ElfEEv21rocsparse_index_base_T1_S2_S2_PKT2_PKS2_PS3_l16rocsparse_order_,"axG",@progbits,_ZN9rocsparseL16ell2dense_kernelILi16ELi32ElfEEv21rocsparse_index_base_T1_S2_S2_PKT2_PKS2_PS3_l16rocsparse_order_,comdat
.Lfunc_end12:
	.size	_ZN9rocsparseL16ell2dense_kernelILi16ELi32ElfEEv21rocsparse_index_base_T1_S2_S2_PKT2_PKS2_PS3_l16rocsparse_order_, .Lfunc_end12-_ZN9rocsparseL16ell2dense_kernelILi16ELi32ElfEEv21rocsparse_index_base_T1_S2_S2_PKT2_PKS2_PS3_l16rocsparse_order_
                                        ; -- End function
	.set _ZN9rocsparseL16ell2dense_kernelILi16ELi32ElfEEv21rocsparse_index_base_T1_S2_S2_PKT2_PKS2_PS3_l16rocsparse_order_.num_vgpr, 13
	.set _ZN9rocsparseL16ell2dense_kernelILi16ELi32ElfEEv21rocsparse_index_base_T1_S2_S2_PKT2_PKS2_PS3_l16rocsparse_order_.num_agpr, 0
	.set _ZN9rocsparseL16ell2dense_kernelILi16ELi32ElfEEv21rocsparse_index_base_T1_S2_S2_PKT2_PKS2_PS3_l16rocsparse_order_.numbered_sgpr, 20
	.set _ZN9rocsparseL16ell2dense_kernelILi16ELi32ElfEEv21rocsparse_index_base_T1_S2_S2_PKT2_PKS2_PS3_l16rocsparse_order_.num_named_barrier, 0
	.set _ZN9rocsparseL16ell2dense_kernelILi16ELi32ElfEEv21rocsparse_index_base_T1_S2_S2_PKT2_PKS2_PS3_l16rocsparse_order_.private_seg_size, 0
	.set _ZN9rocsparseL16ell2dense_kernelILi16ELi32ElfEEv21rocsparse_index_base_T1_S2_S2_PKT2_PKS2_PS3_l16rocsparse_order_.uses_vcc, 1
	.set _ZN9rocsparseL16ell2dense_kernelILi16ELi32ElfEEv21rocsparse_index_base_T1_S2_S2_PKT2_PKS2_PS3_l16rocsparse_order_.uses_flat_scratch, 0
	.set _ZN9rocsparseL16ell2dense_kernelILi16ELi32ElfEEv21rocsparse_index_base_T1_S2_S2_PKT2_PKS2_PS3_l16rocsparse_order_.has_dyn_sized_stack, 0
	.set _ZN9rocsparseL16ell2dense_kernelILi16ELi32ElfEEv21rocsparse_index_base_T1_S2_S2_PKT2_PKS2_PS3_l16rocsparse_order_.has_recursion, 0
	.set _ZN9rocsparseL16ell2dense_kernelILi16ELi32ElfEEv21rocsparse_index_base_T1_S2_S2_PKT2_PKS2_PS3_l16rocsparse_order_.has_indirect_call, 0
	.section	.AMDGPU.csdata,"",@progbits
; Kernel info:
; codeLenInByte = 408
; TotalNumSgprs: 24
; NumVgprs: 13
; ScratchSize: 0
; MemoryBound: 0
; FloatMode: 240
; IeeeMode: 1
; LDSByteSize: 0 bytes/workgroup (compile time only)
; SGPRBlocks: 2
; VGPRBlocks: 3
; NumSGPRsForWavesPerEU: 24
; NumVGPRsForWavesPerEU: 13
; Occupancy: 10
; WaveLimiterHint : 1
; COMPUTE_PGM_RSRC2:SCRATCH_EN: 0
; COMPUTE_PGM_RSRC2:USER_SGPR: 6
; COMPUTE_PGM_RSRC2:TRAP_HANDLER: 0
; COMPUTE_PGM_RSRC2:TGID_X_EN: 1
; COMPUTE_PGM_RSRC2:TGID_Y_EN: 0
; COMPUTE_PGM_RSRC2:TGID_Z_EN: 0
; COMPUTE_PGM_RSRC2:TIDIG_COMP_CNT: 0
	.section	.text._ZN9rocsparseL16ell2dense_kernelILi16ELi64ElfEEv21rocsparse_index_base_T1_S2_S2_PKT2_PKS2_PS3_l16rocsparse_order_,"axG",@progbits,_ZN9rocsparseL16ell2dense_kernelILi16ELi64ElfEEv21rocsparse_index_base_T1_S2_S2_PKT2_PKS2_PS3_l16rocsparse_order_,comdat
	.globl	_ZN9rocsparseL16ell2dense_kernelILi16ELi64ElfEEv21rocsparse_index_base_T1_S2_S2_PKT2_PKS2_PS3_l16rocsparse_order_ ; -- Begin function _ZN9rocsparseL16ell2dense_kernelILi16ELi64ElfEEv21rocsparse_index_base_T1_S2_S2_PKT2_PKS2_PS3_l16rocsparse_order_
	.p2align	8
	.type	_ZN9rocsparseL16ell2dense_kernelILi16ELi64ElfEEv21rocsparse_index_base_T1_S2_S2_PKT2_PKS2_PS3_l16rocsparse_order_,@function
_ZN9rocsparseL16ell2dense_kernelILi16ELi64ElfEEv21rocsparse_index_base_T1_S2_S2_PKT2_PKS2_PS3_l16rocsparse_order_: ; @_ZN9rocsparseL16ell2dense_kernelILi16ELi64ElfEEv21rocsparse_index_base_T1_S2_S2_PKT2_PKS2_PS3_l16rocsparse_order_
; %bb.0:
	s_load_dwordx2 s[0:1], s[4:5], 0x18
	v_lshrrev_b32_e32 v1, 6, v0
	v_lshl_or_b32 v2, s6, 4, v1
	v_mov_b32_e32 v1, 0
	v_mov_b32_e32 v3, v1
	s_waitcnt lgkmcnt(0)
	v_cmp_gt_i64_e32 vcc, s[0:1], v[2:3]
	s_and_saveexec_b64 s[0:1], vcc
	s_cbranch_execz .LBB13_6
; %bb.1:
	s_load_dwordx4 s[16:19], s[4:5], 0x8
	v_and_b32_e32 v0, 63, v0
	s_waitcnt lgkmcnt(0)
	v_cmp_gt_i64_e32 vcc, s[16:17], v[0:1]
	s_and_b64 exec, exec, vcc
	s_cbranch_execz .LBB13_6
; %bb.2:
	v_mad_u64_u32 v[4:5], s[0:1], s16, v2, v[0:1]
	s_load_dwordx8 s[8:15], s[4:5], 0x20
	s_load_dword s2, s[4:5], 0x40
	s_load_dword s6, s[4:5], 0x0
	v_mov_b32_e32 v3, v5
	v_mad_u64_u32 v[2:3], s[0:1], s17, v2, v[3:4]
	s_waitcnt lgkmcnt(0)
	v_mov_b32_e32 v6, s11
	s_cmp_eq_u32 s2, 1
	v_mov_b32_e32 v5, v2
	v_lshlrev_b64 v[2:3], 3, v[4:5]
	v_lshlrev_b64 v[4:5], 2, v[4:5]
	v_add_co_u32_e32 v2, vcc, s10, v2
	v_addc_co_u32_e32 v3, vcc, v6, v3, vcc
	v_mov_b32_e32 v6, s9
	v_add_co_u32_e32 v4, vcc, s8, v4
	s_cselect_b64 s[0:1], -1, 0
	v_addc_co_u32_e32 v5, vcc, v6, v5, vcc
	s_mov_b64 s[4:5], 0
	s_branch .LBB13_4
.LBB13_3:                               ;   in Loop: Header=BB13_4 Depth=1
	s_or_b64 exec, exec, s[2:3]
	v_add_co_u32_e32 v0, vcc, 64, v0
	v_addc_co_u32_e32 v1, vcc, 0, v1, vcc
	v_add_co_u32_e32 v2, vcc, 0x200, v2
	v_addc_co_u32_e32 v3, vcc, 0, v3, vcc
	v_cmp_le_i64_e64 s[2:3], s[16:17], v[0:1]
	v_add_co_u32_e32 v4, vcc, 0x100, v4
	s_or_b64 s[4:5], s[2:3], s[4:5]
	v_addc_co_u32_e32 v5, vcc, 0, v5, vcc
	s_andn2_b64 exec, exec, s[4:5]
	s_cbranch_execz .LBB13_6
.LBB13_4:                               ; =>This Inner Loop Header: Depth=1
	global_load_dwordx2 v[6:7], v[2:3], off
	s_waitcnt vmcnt(0)
	v_subrev_co_u32_e32 v6, vcc, s6, v6
	v_subbrev_co_u32_e32 v7, vcc, 0, v7, vcc
	v_cmp_lt_i64_e32 vcc, -1, v[6:7]
	v_cmp_gt_i64_e64 s[2:3], s[18:19], v[6:7]
	s_and_b64 s[8:9], vcc, s[2:3]
	s_and_saveexec_b64 s[2:3], s[8:9]
	s_cbranch_execz .LBB13_3
; %bb.5:                                ;   in Loop: Header=BB13_4 Depth=1
	global_load_dword v10, v[4:5], off
	v_cndmask_b32_e64 v8, v0, v6, s[0:1]
	v_cndmask_b32_e64 v9, v1, v7, s[0:1]
	v_mul_lo_u32 v11, v9, s14
	v_mul_lo_u32 v12, v8, s15
	v_mad_u64_u32 v[8:9], s[8:9], v8, s14, 0
	v_cndmask_b32_e64 v7, v7, v1, s[0:1]
	v_cndmask_b32_e64 v6, v6, v0, s[0:1]
	v_add3_u32 v9, v9, v12, v11
	v_lshlrev_b64 v[8:9], 2, v[8:9]
	v_mov_b32_e32 v11, s13
	v_add_co_u32_e32 v8, vcc, s12, v8
	v_lshlrev_b64 v[6:7], 2, v[6:7]
	v_addc_co_u32_e32 v9, vcc, v11, v9, vcc
	v_add_co_u32_e32 v6, vcc, v8, v6
	v_addc_co_u32_e32 v7, vcc, v9, v7, vcc
	s_waitcnt vmcnt(0)
	global_store_dword v[6:7], v10, off
	s_branch .LBB13_3
.LBB13_6:
	s_endpgm
	.section	.rodata,"a",@progbits
	.p2align	6, 0x0
	.amdhsa_kernel _ZN9rocsparseL16ell2dense_kernelILi16ELi64ElfEEv21rocsparse_index_base_T1_S2_S2_PKT2_PKS2_PS3_l16rocsparse_order_
		.amdhsa_group_segment_fixed_size 0
		.amdhsa_private_segment_fixed_size 0
		.amdhsa_kernarg_size 68
		.amdhsa_user_sgpr_count 6
		.amdhsa_user_sgpr_private_segment_buffer 1
		.amdhsa_user_sgpr_dispatch_ptr 0
		.amdhsa_user_sgpr_queue_ptr 0
		.amdhsa_user_sgpr_kernarg_segment_ptr 1
		.amdhsa_user_sgpr_dispatch_id 0
		.amdhsa_user_sgpr_flat_scratch_init 0
		.amdhsa_user_sgpr_private_segment_size 0
		.amdhsa_uses_dynamic_stack 0
		.amdhsa_system_sgpr_private_segment_wavefront_offset 0
		.amdhsa_system_sgpr_workgroup_id_x 1
		.amdhsa_system_sgpr_workgroup_id_y 0
		.amdhsa_system_sgpr_workgroup_id_z 0
		.amdhsa_system_sgpr_workgroup_info 0
		.amdhsa_system_vgpr_workitem_id 0
		.amdhsa_next_free_vgpr 13
		.amdhsa_next_free_sgpr 20
		.amdhsa_reserve_vcc 1
		.amdhsa_reserve_flat_scratch 0
		.amdhsa_float_round_mode_32 0
		.amdhsa_float_round_mode_16_64 0
		.amdhsa_float_denorm_mode_32 3
		.amdhsa_float_denorm_mode_16_64 3
		.amdhsa_dx10_clamp 1
		.amdhsa_ieee_mode 1
		.amdhsa_fp16_overflow 0
		.amdhsa_exception_fp_ieee_invalid_op 0
		.amdhsa_exception_fp_denorm_src 0
		.amdhsa_exception_fp_ieee_div_zero 0
		.amdhsa_exception_fp_ieee_overflow 0
		.amdhsa_exception_fp_ieee_underflow 0
		.amdhsa_exception_fp_ieee_inexact 0
		.amdhsa_exception_int_div_zero 0
	.end_amdhsa_kernel
	.section	.text._ZN9rocsparseL16ell2dense_kernelILi16ELi64ElfEEv21rocsparse_index_base_T1_S2_S2_PKT2_PKS2_PS3_l16rocsparse_order_,"axG",@progbits,_ZN9rocsparseL16ell2dense_kernelILi16ELi64ElfEEv21rocsparse_index_base_T1_S2_S2_PKT2_PKS2_PS3_l16rocsparse_order_,comdat
.Lfunc_end13:
	.size	_ZN9rocsparseL16ell2dense_kernelILi16ELi64ElfEEv21rocsparse_index_base_T1_S2_S2_PKT2_PKS2_PS3_l16rocsparse_order_, .Lfunc_end13-_ZN9rocsparseL16ell2dense_kernelILi16ELi64ElfEEv21rocsparse_index_base_T1_S2_S2_PKT2_PKS2_PS3_l16rocsparse_order_
                                        ; -- End function
	.set _ZN9rocsparseL16ell2dense_kernelILi16ELi64ElfEEv21rocsparse_index_base_T1_S2_S2_PKT2_PKS2_PS3_l16rocsparse_order_.num_vgpr, 13
	.set _ZN9rocsparseL16ell2dense_kernelILi16ELi64ElfEEv21rocsparse_index_base_T1_S2_S2_PKT2_PKS2_PS3_l16rocsparse_order_.num_agpr, 0
	.set _ZN9rocsparseL16ell2dense_kernelILi16ELi64ElfEEv21rocsparse_index_base_T1_S2_S2_PKT2_PKS2_PS3_l16rocsparse_order_.numbered_sgpr, 20
	.set _ZN9rocsparseL16ell2dense_kernelILi16ELi64ElfEEv21rocsparse_index_base_T1_S2_S2_PKT2_PKS2_PS3_l16rocsparse_order_.num_named_barrier, 0
	.set _ZN9rocsparseL16ell2dense_kernelILi16ELi64ElfEEv21rocsparse_index_base_T1_S2_S2_PKT2_PKS2_PS3_l16rocsparse_order_.private_seg_size, 0
	.set _ZN9rocsparseL16ell2dense_kernelILi16ELi64ElfEEv21rocsparse_index_base_T1_S2_S2_PKT2_PKS2_PS3_l16rocsparse_order_.uses_vcc, 1
	.set _ZN9rocsparseL16ell2dense_kernelILi16ELi64ElfEEv21rocsparse_index_base_T1_S2_S2_PKT2_PKS2_PS3_l16rocsparse_order_.uses_flat_scratch, 0
	.set _ZN9rocsparseL16ell2dense_kernelILi16ELi64ElfEEv21rocsparse_index_base_T1_S2_S2_PKT2_PKS2_PS3_l16rocsparse_order_.has_dyn_sized_stack, 0
	.set _ZN9rocsparseL16ell2dense_kernelILi16ELi64ElfEEv21rocsparse_index_base_T1_S2_S2_PKT2_PKS2_PS3_l16rocsparse_order_.has_recursion, 0
	.set _ZN9rocsparseL16ell2dense_kernelILi16ELi64ElfEEv21rocsparse_index_base_T1_S2_S2_PKT2_PKS2_PS3_l16rocsparse_order_.has_indirect_call, 0
	.section	.AMDGPU.csdata,"",@progbits
; Kernel info:
; codeLenInByte = 408
; TotalNumSgprs: 24
; NumVgprs: 13
; ScratchSize: 0
; MemoryBound: 0
; FloatMode: 240
; IeeeMode: 1
; LDSByteSize: 0 bytes/workgroup (compile time only)
; SGPRBlocks: 2
; VGPRBlocks: 3
; NumSGPRsForWavesPerEU: 24
; NumVGPRsForWavesPerEU: 13
; Occupancy: 10
; WaveLimiterHint : 1
; COMPUTE_PGM_RSRC2:SCRATCH_EN: 0
; COMPUTE_PGM_RSRC2:USER_SGPR: 6
; COMPUTE_PGM_RSRC2:TRAP_HANDLER: 0
; COMPUTE_PGM_RSRC2:TGID_X_EN: 1
; COMPUTE_PGM_RSRC2:TGID_Y_EN: 0
; COMPUTE_PGM_RSRC2:TGID_Z_EN: 0
; COMPUTE_PGM_RSRC2:TIDIG_COMP_CNT: 0
	.section	.text._ZN9rocsparseL16ell2dense_kernelILi16ELi32EldEEv21rocsparse_index_base_T1_S2_S2_PKT2_PKS2_PS3_l16rocsparse_order_,"axG",@progbits,_ZN9rocsparseL16ell2dense_kernelILi16ELi32EldEEv21rocsparse_index_base_T1_S2_S2_PKT2_PKS2_PS3_l16rocsparse_order_,comdat
	.globl	_ZN9rocsparseL16ell2dense_kernelILi16ELi32EldEEv21rocsparse_index_base_T1_S2_S2_PKT2_PKS2_PS3_l16rocsparse_order_ ; -- Begin function _ZN9rocsparseL16ell2dense_kernelILi16ELi32EldEEv21rocsparse_index_base_T1_S2_S2_PKT2_PKS2_PS3_l16rocsparse_order_
	.p2align	8
	.type	_ZN9rocsparseL16ell2dense_kernelILi16ELi32EldEEv21rocsparse_index_base_T1_S2_S2_PKT2_PKS2_PS3_l16rocsparse_order_,@function
_ZN9rocsparseL16ell2dense_kernelILi16ELi32EldEEv21rocsparse_index_base_T1_S2_S2_PKT2_PKS2_PS3_l16rocsparse_order_: ; @_ZN9rocsparseL16ell2dense_kernelILi16ELi32EldEEv21rocsparse_index_base_T1_S2_S2_PKT2_PKS2_PS3_l16rocsparse_order_
; %bb.0:
	s_load_dwordx2 s[0:1], s[4:5], 0x18
	v_lshrrev_b32_e32 v1, 5, v0
	v_lshl_or_b32 v2, s6, 4, v1
	v_mov_b32_e32 v1, 0
	v_mov_b32_e32 v3, v1
	s_waitcnt lgkmcnt(0)
	v_cmp_gt_i64_e32 vcc, s[0:1], v[2:3]
	s_and_saveexec_b64 s[0:1], vcc
	s_cbranch_execz .LBB14_6
; %bb.1:
	s_load_dwordx4 s[16:19], s[4:5], 0x8
	v_and_b32_e32 v0, 31, v0
	s_waitcnt lgkmcnt(0)
	v_cmp_gt_i64_e32 vcc, s[16:17], v[0:1]
	s_and_b64 exec, exec, vcc
	s_cbranch_execz .LBB14_6
; %bb.2:
	v_mad_u64_u32 v[3:4], s[0:1], s16, v2, v[0:1]
	s_load_dwordx8 s[8:15], s[4:5], 0x20
	s_load_dword s2, s[4:5], 0x40
	s_load_dword s6, s[4:5], 0x0
	v_mad_u64_u32 v[4:5], s[0:1], s17, v2, v[4:5]
	s_waitcnt lgkmcnt(0)
	v_mov_b32_e32 v6, s9
	s_cmp_eq_u32 s2, 1
	v_lshlrev_b64 v[4:5], 3, v[3:4]
	v_mov_b32_e32 v3, s11
	v_add_co_u32_e32 v2, vcc, s10, v4
	v_addc_co_u32_e32 v3, vcc, v3, v5, vcc
	v_add_co_u32_e32 v4, vcc, s8, v4
	s_cselect_b64 s[0:1], -1, 0
	v_addc_co_u32_e32 v5, vcc, v6, v5, vcc
	s_mov_b64 s[4:5], 0
	s_branch .LBB14_4
.LBB14_3:                               ;   in Loop: Header=BB14_4 Depth=1
	s_or_b64 exec, exec, s[2:3]
	v_add_co_u32_e32 v0, vcc, 32, v0
	v_addc_co_u32_e32 v1, vcc, 0, v1, vcc
	v_add_co_u32_e32 v2, vcc, 0x100, v2
	v_addc_co_u32_e32 v3, vcc, 0, v3, vcc
	v_cmp_le_i64_e64 s[2:3], s[16:17], v[0:1]
	v_add_co_u32_e32 v4, vcc, 0x100, v4
	s_or_b64 s[4:5], s[2:3], s[4:5]
	v_addc_co_u32_e32 v5, vcc, 0, v5, vcc
	s_andn2_b64 exec, exec, s[4:5]
	s_cbranch_execz .LBB14_6
.LBB14_4:                               ; =>This Inner Loop Header: Depth=1
	global_load_dwordx2 v[6:7], v[2:3], off
	s_waitcnt vmcnt(0)
	v_subrev_co_u32_e32 v6, vcc, s6, v6
	v_subbrev_co_u32_e32 v7, vcc, 0, v7, vcc
	v_cmp_lt_i64_e32 vcc, -1, v[6:7]
	v_cmp_gt_i64_e64 s[2:3], s[18:19], v[6:7]
	s_and_b64 s[8:9], vcc, s[2:3]
	s_and_saveexec_b64 s[2:3], s[8:9]
	s_cbranch_execz .LBB14_3
; %bb.5:                                ;   in Loop: Header=BB14_4 Depth=1
	global_load_dwordx2 v[8:9], v[4:5], off
	v_cndmask_b32_e64 v10, v0, v6, s[0:1]
	v_cndmask_b32_e64 v11, v1, v7, s[0:1]
	v_mul_lo_u32 v12, v11, s14
	v_mul_lo_u32 v13, v10, s15
	v_mad_u64_u32 v[10:11], s[8:9], v10, s14, 0
	v_cndmask_b32_e64 v7, v7, v1, s[0:1]
	v_cndmask_b32_e64 v6, v6, v0, s[0:1]
	v_add3_u32 v11, v11, v13, v12
	v_lshlrev_b64 v[10:11], 3, v[10:11]
	v_mov_b32_e32 v12, s13
	v_add_co_u32_e32 v10, vcc, s12, v10
	v_lshlrev_b64 v[6:7], 3, v[6:7]
	v_addc_co_u32_e32 v11, vcc, v12, v11, vcc
	v_add_co_u32_e32 v6, vcc, v10, v6
	v_addc_co_u32_e32 v7, vcc, v11, v7, vcc
	s_waitcnt vmcnt(0)
	global_store_dwordx2 v[6:7], v[8:9], off
	s_branch .LBB14_3
.LBB14_6:
	s_endpgm
	.section	.rodata,"a",@progbits
	.p2align	6, 0x0
	.amdhsa_kernel _ZN9rocsparseL16ell2dense_kernelILi16ELi32EldEEv21rocsparse_index_base_T1_S2_S2_PKT2_PKS2_PS3_l16rocsparse_order_
		.amdhsa_group_segment_fixed_size 0
		.amdhsa_private_segment_fixed_size 0
		.amdhsa_kernarg_size 68
		.amdhsa_user_sgpr_count 6
		.amdhsa_user_sgpr_private_segment_buffer 1
		.amdhsa_user_sgpr_dispatch_ptr 0
		.amdhsa_user_sgpr_queue_ptr 0
		.amdhsa_user_sgpr_kernarg_segment_ptr 1
		.amdhsa_user_sgpr_dispatch_id 0
		.amdhsa_user_sgpr_flat_scratch_init 0
		.amdhsa_user_sgpr_private_segment_size 0
		.amdhsa_uses_dynamic_stack 0
		.amdhsa_system_sgpr_private_segment_wavefront_offset 0
		.amdhsa_system_sgpr_workgroup_id_x 1
		.amdhsa_system_sgpr_workgroup_id_y 0
		.amdhsa_system_sgpr_workgroup_id_z 0
		.amdhsa_system_sgpr_workgroup_info 0
		.amdhsa_system_vgpr_workitem_id 0
		.amdhsa_next_free_vgpr 14
		.amdhsa_next_free_sgpr 20
		.amdhsa_reserve_vcc 1
		.amdhsa_reserve_flat_scratch 0
		.amdhsa_float_round_mode_32 0
		.amdhsa_float_round_mode_16_64 0
		.amdhsa_float_denorm_mode_32 3
		.amdhsa_float_denorm_mode_16_64 3
		.amdhsa_dx10_clamp 1
		.amdhsa_ieee_mode 1
		.amdhsa_fp16_overflow 0
		.amdhsa_exception_fp_ieee_invalid_op 0
		.amdhsa_exception_fp_denorm_src 0
		.amdhsa_exception_fp_ieee_div_zero 0
		.amdhsa_exception_fp_ieee_overflow 0
		.amdhsa_exception_fp_ieee_underflow 0
		.amdhsa_exception_fp_ieee_inexact 0
		.amdhsa_exception_int_div_zero 0
	.end_amdhsa_kernel
	.section	.text._ZN9rocsparseL16ell2dense_kernelILi16ELi32EldEEv21rocsparse_index_base_T1_S2_S2_PKT2_PKS2_PS3_l16rocsparse_order_,"axG",@progbits,_ZN9rocsparseL16ell2dense_kernelILi16ELi32EldEEv21rocsparse_index_base_T1_S2_S2_PKT2_PKS2_PS3_l16rocsparse_order_,comdat
.Lfunc_end14:
	.size	_ZN9rocsparseL16ell2dense_kernelILi16ELi32EldEEv21rocsparse_index_base_T1_S2_S2_PKT2_PKS2_PS3_l16rocsparse_order_, .Lfunc_end14-_ZN9rocsparseL16ell2dense_kernelILi16ELi32EldEEv21rocsparse_index_base_T1_S2_S2_PKT2_PKS2_PS3_l16rocsparse_order_
                                        ; -- End function
	.set _ZN9rocsparseL16ell2dense_kernelILi16ELi32EldEEv21rocsparse_index_base_T1_S2_S2_PKT2_PKS2_PS3_l16rocsparse_order_.num_vgpr, 14
	.set _ZN9rocsparseL16ell2dense_kernelILi16ELi32EldEEv21rocsparse_index_base_T1_S2_S2_PKT2_PKS2_PS3_l16rocsparse_order_.num_agpr, 0
	.set _ZN9rocsparseL16ell2dense_kernelILi16ELi32EldEEv21rocsparse_index_base_T1_S2_S2_PKT2_PKS2_PS3_l16rocsparse_order_.numbered_sgpr, 20
	.set _ZN9rocsparseL16ell2dense_kernelILi16ELi32EldEEv21rocsparse_index_base_T1_S2_S2_PKT2_PKS2_PS3_l16rocsparse_order_.num_named_barrier, 0
	.set _ZN9rocsparseL16ell2dense_kernelILi16ELi32EldEEv21rocsparse_index_base_T1_S2_S2_PKT2_PKS2_PS3_l16rocsparse_order_.private_seg_size, 0
	.set _ZN9rocsparseL16ell2dense_kernelILi16ELi32EldEEv21rocsparse_index_base_T1_S2_S2_PKT2_PKS2_PS3_l16rocsparse_order_.uses_vcc, 1
	.set _ZN9rocsparseL16ell2dense_kernelILi16ELi32EldEEv21rocsparse_index_base_T1_S2_S2_PKT2_PKS2_PS3_l16rocsparse_order_.uses_flat_scratch, 0
	.set _ZN9rocsparseL16ell2dense_kernelILi16ELi32EldEEv21rocsparse_index_base_T1_S2_S2_PKT2_PKS2_PS3_l16rocsparse_order_.has_dyn_sized_stack, 0
	.set _ZN9rocsparseL16ell2dense_kernelILi16ELi32EldEEv21rocsparse_index_base_T1_S2_S2_PKT2_PKS2_PS3_l16rocsparse_order_.has_recursion, 0
	.set _ZN9rocsparseL16ell2dense_kernelILi16ELi32EldEEv21rocsparse_index_base_T1_S2_S2_PKT2_PKS2_PS3_l16rocsparse_order_.has_indirect_call, 0
	.section	.AMDGPU.csdata,"",@progbits
; Kernel info:
; codeLenInByte = 392
; TotalNumSgprs: 24
; NumVgprs: 14
; ScratchSize: 0
; MemoryBound: 0
; FloatMode: 240
; IeeeMode: 1
; LDSByteSize: 0 bytes/workgroup (compile time only)
; SGPRBlocks: 2
; VGPRBlocks: 3
; NumSGPRsForWavesPerEU: 24
; NumVGPRsForWavesPerEU: 14
; Occupancy: 10
; WaveLimiterHint : 1
; COMPUTE_PGM_RSRC2:SCRATCH_EN: 0
; COMPUTE_PGM_RSRC2:USER_SGPR: 6
; COMPUTE_PGM_RSRC2:TRAP_HANDLER: 0
; COMPUTE_PGM_RSRC2:TGID_X_EN: 1
; COMPUTE_PGM_RSRC2:TGID_Y_EN: 0
; COMPUTE_PGM_RSRC2:TGID_Z_EN: 0
; COMPUTE_PGM_RSRC2:TIDIG_COMP_CNT: 0
	.section	.text._ZN9rocsparseL16ell2dense_kernelILi16ELi64EldEEv21rocsparse_index_base_T1_S2_S2_PKT2_PKS2_PS3_l16rocsparse_order_,"axG",@progbits,_ZN9rocsparseL16ell2dense_kernelILi16ELi64EldEEv21rocsparse_index_base_T1_S2_S2_PKT2_PKS2_PS3_l16rocsparse_order_,comdat
	.globl	_ZN9rocsparseL16ell2dense_kernelILi16ELi64EldEEv21rocsparse_index_base_T1_S2_S2_PKT2_PKS2_PS3_l16rocsparse_order_ ; -- Begin function _ZN9rocsparseL16ell2dense_kernelILi16ELi64EldEEv21rocsparse_index_base_T1_S2_S2_PKT2_PKS2_PS3_l16rocsparse_order_
	.p2align	8
	.type	_ZN9rocsparseL16ell2dense_kernelILi16ELi64EldEEv21rocsparse_index_base_T1_S2_S2_PKT2_PKS2_PS3_l16rocsparse_order_,@function
_ZN9rocsparseL16ell2dense_kernelILi16ELi64EldEEv21rocsparse_index_base_T1_S2_S2_PKT2_PKS2_PS3_l16rocsparse_order_: ; @_ZN9rocsparseL16ell2dense_kernelILi16ELi64EldEEv21rocsparse_index_base_T1_S2_S2_PKT2_PKS2_PS3_l16rocsparse_order_
; %bb.0:
	s_load_dwordx2 s[0:1], s[4:5], 0x18
	v_lshrrev_b32_e32 v1, 6, v0
	v_lshl_or_b32 v2, s6, 4, v1
	v_mov_b32_e32 v1, 0
	v_mov_b32_e32 v3, v1
	s_waitcnt lgkmcnt(0)
	v_cmp_gt_i64_e32 vcc, s[0:1], v[2:3]
	s_and_saveexec_b64 s[0:1], vcc
	s_cbranch_execz .LBB15_6
; %bb.1:
	s_load_dwordx4 s[16:19], s[4:5], 0x8
	v_and_b32_e32 v0, 63, v0
	s_waitcnt lgkmcnt(0)
	v_cmp_gt_i64_e32 vcc, s[16:17], v[0:1]
	s_and_b64 exec, exec, vcc
	s_cbranch_execz .LBB15_6
; %bb.2:
	v_mad_u64_u32 v[3:4], s[0:1], s16, v2, v[0:1]
	s_load_dwordx8 s[8:15], s[4:5], 0x20
	s_load_dword s2, s[4:5], 0x40
	s_load_dword s6, s[4:5], 0x0
	v_mad_u64_u32 v[4:5], s[0:1], s17, v2, v[4:5]
	s_waitcnt lgkmcnt(0)
	v_mov_b32_e32 v6, s9
	s_cmp_eq_u32 s2, 1
	v_lshlrev_b64 v[4:5], 3, v[3:4]
	v_mov_b32_e32 v3, s11
	v_add_co_u32_e32 v2, vcc, s10, v4
	v_addc_co_u32_e32 v3, vcc, v3, v5, vcc
	v_add_co_u32_e32 v4, vcc, s8, v4
	s_cselect_b64 s[0:1], -1, 0
	v_addc_co_u32_e32 v5, vcc, v6, v5, vcc
	s_mov_b64 s[4:5], 0
	s_branch .LBB15_4
.LBB15_3:                               ;   in Loop: Header=BB15_4 Depth=1
	s_or_b64 exec, exec, s[2:3]
	v_add_co_u32_e32 v0, vcc, 64, v0
	v_addc_co_u32_e32 v1, vcc, 0, v1, vcc
	v_add_co_u32_e32 v2, vcc, 0x200, v2
	v_addc_co_u32_e32 v3, vcc, 0, v3, vcc
	v_cmp_le_i64_e64 s[2:3], s[16:17], v[0:1]
	v_add_co_u32_e32 v4, vcc, 0x200, v4
	s_or_b64 s[4:5], s[2:3], s[4:5]
	v_addc_co_u32_e32 v5, vcc, 0, v5, vcc
	s_andn2_b64 exec, exec, s[4:5]
	s_cbranch_execz .LBB15_6
.LBB15_4:                               ; =>This Inner Loop Header: Depth=1
	global_load_dwordx2 v[6:7], v[2:3], off
	s_waitcnt vmcnt(0)
	v_subrev_co_u32_e32 v6, vcc, s6, v6
	v_subbrev_co_u32_e32 v7, vcc, 0, v7, vcc
	v_cmp_lt_i64_e32 vcc, -1, v[6:7]
	v_cmp_gt_i64_e64 s[2:3], s[18:19], v[6:7]
	s_and_b64 s[8:9], vcc, s[2:3]
	s_and_saveexec_b64 s[2:3], s[8:9]
	s_cbranch_execz .LBB15_3
; %bb.5:                                ;   in Loop: Header=BB15_4 Depth=1
	global_load_dwordx2 v[8:9], v[4:5], off
	v_cndmask_b32_e64 v10, v0, v6, s[0:1]
	v_cndmask_b32_e64 v11, v1, v7, s[0:1]
	v_mul_lo_u32 v12, v11, s14
	v_mul_lo_u32 v13, v10, s15
	v_mad_u64_u32 v[10:11], s[8:9], v10, s14, 0
	v_cndmask_b32_e64 v7, v7, v1, s[0:1]
	v_cndmask_b32_e64 v6, v6, v0, s[0:1]
	v_add3_u32 v11, v11, v13, v12
	v_lshlrev_b64 v[10:11], 3, v[10:11]
	v_mov_b32_e32 v12, s13
	v_add_co_u32_e32 v10, vcc, s12, v10
	v_lshlrev_b64 v[6:7], 3, v[6:7]
	v_addc_co_u32_e32 v11, vcc, v12, v11, vcc
	v_add_co_u32_e32 v6, vcc, v10, v6
	v_addc_co_u32_e32 v7, vcc, v11, v7, vcc
	s_waitcnt vmcnt(0)
	global_store_dwordx2 v[6:7], v[8:9], off
	s_branch .LBB15_3
.LBB15_6:
	s_endpgm
	.section	.rodata,"a",@progbits
	.p2align	6, 0x0
	.amdhsa_kernel _ZN9rocsparseL16ell2dense_kernelILi16ELi64EldEEv21rocsparse_index_base_T1_S2_S2_PKT2_PKS2_PS3_l16rocsparse_order_
		.amdhsa_group_segment_fixed_size 0
		.amdhsa_private_segment_fixed_size 0
		.amdhsa_kernarg_size 68
		.amdhsa_user_sgpr_count 6
		.amdhsa_user_sgpr_private_segment_buffer 1
		.amdhsa_user_sgpr_dispatch_ptr 0
		.amdhsa_user_sgpr_queue_ptr 0
		.amdhsa_user_sgpr_kernarg_segment_ptr 1
		.amdhsa_user_sgpr_dispatch_id 0
		.amdhsa_user_sgpr_flat_scratch_init 0
		.amdhsa_user_sgpr_private_segment_size 0
		.amdhsa_uses_dynamic_stack 0
		.amdhsa_system_sgpr_private_segment_wavefront_offset 0
		.amdhsa_system_sgpr_workgroup_id_x 1
		.amdhsa_system_sgpr_workgroup_id_y 0
		.amdhsa_system_sgpr_workgroup_id_z 0
		.amdhsa_system_sgpr_workgroup_info 0
		.amdhsa_system_vgpr_workitem_id 0
		.amdhsa_next_free_vgpr 14
		.amdhsa_next_free_sgpr 20
		.amdhsa_reserve_vcc 1
		.amdhsa_reserve_flat_scratch 0
		.amdhsa_float_round_mode_32 0
		.amdhsa_float_round_mode_16_64 0
		.amdhsa_float_denorm_mode_32 3
		.amdhsa_float_denorm_mode_16_64 3
		.amdhsa_dx10_clamp 1
		.amdhsa_ieee_mode 1
		.amdhsa_fp16_overflow 0
		.amdhsa_exception_fp_ieee_invalid_op 0
		.amdhsa_exception_fp_denorm_src 0
		.amdhsa_exception_fp_ieee_div_zero 0
		.amdhsa_exception_fp_ieee_overflow 0
		.amdhsa_exception_fp_ieee_underflow 0
		.amdhsa_exception_fp_ieee_inexact 0
		.amdhsa_exception_int_div_zero 0
	.end_amdhsa_kernel
	.section	.text._ZN9rocsparseL16ell2dense_kernelILi16ELi64EldEEv21rocsparse_index_base_T1_S2_S2_PKT2_PKS2_PS3_l16rocsparse_order_,"axG",@progbits,_ZN9rocsparseL16ell2dense_kernelILi16ELi64EldEEv21rocsparse_index_base_T1_S2_S2_PKT2_PKS2_PS3_l16rocsparse_order_,comdat
.Lfunc_end15:
	.size	_ZN9rocsparseL16ell2dense_kernelILi16ELi64EldEEv21rocsparse_index_base_T1_S2_S2_PKT2_PKS2_PS3_l16rocsparse_order_, .Lfunc_end15-_ZN9rocsparseL16ell2dense_kernelILi16ELi64EldEEv21rocsparse_index_base_T1_S2_S2_PKT2_PKS2_PS3_l16rocsparse_order_
                                        ; -- End function
	.set _ZN9rocsparseL16ell2dense_kernelILi16ELi64EldEEv21rocsparse_index_base_T1_S2_S2_PKT2_PKS2_PS3_l16rocsparse_order_.num_vgpr, 14
	.set _ZN9rocsparseL16ell2dense_kernelILi16ELi64EldEEv21rocsparse_index_base_T1_S2_S2_PKT2_PKS2_PS3_l16rocsparse_order_.num_agpr, 0
	.set _ZN9rocsparseL16ell2dense_kernelILi16ELi64EldEEv21rocsparse_index_base_T1_S2_S2_PKT2_PKS2_PS3_l16rocsparse_order_.numbered_sgpr, 20
	.set _ZN9rocsparseL16ell2dense_kernelILi16ELi64EldEEv21rocsparse_index_base_T1_S2_S2_PKT2_PKS2_PS3_l16rocsparse_order_.num_named_barrier, 0
	.set _ZN9rocsparseL16ell2dense_kernelILi16ELi64EldEEv21rocsparse_index_base_T1_S2_S2_PKT2_PKS2_PS3_l16rocsparse_order_.private_seg_size, 0
	.set _ZN9rocsparseL16ell2dense_kernelILi16ELi64EldEEv21rocsparse_index_base_T1_S2_S2_PKT2_PKS2_PS3_l16rocsparse_order_.uses_vcc, 1
	.set _ZN9rocsparseL16ell2dense_kernelILi16ELi64EldEEv21rocsparse_index_base_T1_S2_S2_PKT2_PKS2_PS3_l16rocsparse_order_.uses_flat_scratch, 0
	.set _ZN9rocsparseL16ell2dense_kernelILi16ELi64EldEEv21rocsparse_index_base_T1_S2_S2_PKT2_PKS2_PS3_l16rocsparse_order_.has_dyn_sized_stack, 0
	.set _ZN9rocsparseL16ell2dense_kernelILi16ELi64EldEEv21rocsparse_index_base_T1_S2_S2_PKT2_PKS2_PS3_l16rocsparse_order_.has_recursion, 0
	.set _ZN9rocsparseL16ell2dense_kernelILi16ELi64EldEEv21rocsparse_index_base_T1_S2_S2_PKT2_PKS2_PS3_l16rocsparse_order_.has_indirect_call, 0
	.section	.AMDGPU.csdata,"",@progbits
; Kernel info:
; codeLenInByte = 392
; TotalNumSgprs: 24
; NumVgprs: 14
; ScratchSize: 0
; MemoryBound: 0
; FloatMode: 240
; IeeeMode: 1
; LDSByteSize: 0 bytes/workgroup (compile time only)
; SGPRBlocks: 2
; VGPRBlocks: 3
; NumSGPRsForWavesPerEU: 24
; NumVGPRsForWavesPerEU: 14
; Occupancy: 10
; WaveLimiterHint : 1
; COMPUTE_PGM_RSRC2:SCRATCH_EN: 0
; COMPUTE_PGM_RSRC2:USER_SGPR: 6
; COMPUTE_PGM_RSRC2:TRAP_HANDLER: 0
; COMPUTE_PGM_RSRC2:TGID_X_EN: 1
; COMPUTE_PGM_RSRC2:TGID_Y_EN: 0
; COMPUTE_PGM_RSRC2:TGID_Z_EN: 0
; COMPUTE_PGM_RSRC2:TIDIG_COMP_CNT: 0
	.section	.text._ZN9rocsparseL16ell2dense_kernelILi16ELi32El21rocsparse_complex_numIfEEEv21rocsparse_index_base_T1_S4_S4_PKT2_PKS4_PS5_l16rocsparse_order_,"axG",@progbits,_ZN9rocsparseL16ell2dense_kernelILi16ELi32El21rocsparse_complex_numIfEEEv21rocsparse_index_base_T1_S4_S4_PKT2_PKS4_PS5_l16rocsparse_order_,comdat
	.globl	_ZN9rocsparseL16ell2dense_kernelILi16ELi32El21rocsparse_complex_numIfEEEv21rocsparse_index_base_T1_S4_S4_PKT2_PKS4_PS5_l16rocsparse_order_ ; -- Begin function _ZN9rocsparseL16ell2dense_kernelILi16ELi32El21rocsparse_complex_numIfEEEv21rocsparse_index_base_T1_S4_S4_PKT2_PKS4_PS5_l16rocsparse_order_
	.p2align	8
	.type	_ZN9rocsparseL16ell2dense_kernelILi16ELi32El21rocsparse_complex_numIfEEEv21rocsparse_index_base_T1_S4_S4_PKT2_PKS4_PS5_l16rocsparse_order_,@function
_ZN9rocsparseL16ell2dense_kernelILi16ELi32El21rocsparse_complex_numIfEEEv21rocsparse_index_base_T1_S4_S4_PKT2_PKS4_PS5_l16rocsparse_order_: ; @_ZN9rocsparseL16ell2dense_kernelILi16ELi32El21rocsparse_complex_numIfEEEv21rocsparse_index_base_T1_S4_S4_PKT2_PKS4_PS5_l16rocsparse_order_
; %bb.0:
	s_load_dwordx2 s[0:1], s[4:5], 0x18
	v_lshrrev_b32_e32 v1, 5, v0
	v_lshl_or_b32 v2, s6, 4, v1
	v_mov_b32_e32 v1, 0
	v_mov_b32_e32 v3, v1
	s_waitcnt lgkmcnt(0)
	v_cmp_gt_i64_e32 vcc, s[0:1], v[2:3]
	s_and_saveexec_b64 s[0:1], vcc
	s_cbranch_execz .LBB16_6
; %bb.1:
	s_load_dwordx4 s[16:19], s[4:5], 0x8
	v_and_b32_e32 v0, 31, v0
	s_waitcnt lgkmcnt(0)
	v_cmp_gt_i64_e32 vcc, s[16:17], v[0:1]
	s_and_b64 exec, exec, vcc
	s_cbranch_execz .LBB16_6
; %bb.2:
	v_mad_u64_u32 v[3:4], s[0:1], s16, v2, v[0:1]
	s_load_dwordx8 s[8:15], s[4:5], 0x20
	s_load_dword s2, s[4:5], 0x40
	s_load_dword s6, s[4:5], 0x0
	v_mad_u64_u32 v[4:5], s[0:1], s17, v2, v[4:5]
	s_waitcnt lgkmcnt(0)
	v_mov_b32_e32 v6, s9
	s_cmp_eq_u32 s2, 1
	v_lshlrev_b64 v[4:5], 3, v[3:4]
	v_mov_b32_e32 v3, s11
	v_add_co_u32_e32 v2, vcc, s10, v4
	v_addc_co_u32_e32 v3, vcc, v3, v5, vcc
	v_add_co_u32_e32 v4, vcc, s8, v4
	s_cselect_b64 s[0:1], -1, 0
	v_addc_co_u32_e32 v5, vcc, v6, v5, vcc
	s_mov_b64 s[4:5], 0
	s_branch .LBB16_4
.LBB16_3:                               ;   in Loop: Header=BB16_4 Depth=1
	s_or_b64 exec, exec, s[2:3]
	v_add_co_u32_e32 v0, vcc, 32, v0
	v_addc_co_u32_e32 v1, vcc, 0, v1, vcc
	v_add_co_u32_e32 v2, vcc, 0x100, v2
	v_addc_co_u32_e32 v3, vcc, 0, v3, vcc
	v_cmp_le_i64_e64 s[2:3], s[16:17], v[0:1]
	v_add_co_u32_e32 v4, vcc, 0x100, v4
	s_or_b64 s[4:5], s[2:3], s[4:5]
	v_addc_co_u32_e32 v5, vcc, 0, v5, vcc
	s_andn2_b64 exec, exec, s[4:5]
	s_cbranch_execz .LBB16_6
.LBB16_4:                               ; =>This Inner Loop Header: Depth=1
	global_load_dwordx2 v[6:7], v[2:3], off
	s_waitcnt vmcnt(0)
	v_subrev_co_u32_e32 v6, vcc, s6, v6
	v_subbrev_co_u32_e32 v7, vcc, 0, v7, vcc
	v_cmp_lt_i64_e32 vcc, -1, v[6:7]
	v_cmp_gt_i64_e64 s[2:3], s[18:19], v[6:7]
	s_and_b64 s[8:9], vcc, s[2:3]
	s_and_saveexec_b64 s[2:3], s[8:9]
	s_cbranch_execz .LBB16_3
; %bb.5:                                ;   in Loop: Header=BB16_4 Depth=1
	global_load_dwordx2 v[8:9], v[4:5], off
	v_cndmask_b32_e64 v10, v0, v6, s[0:1]
	v_cndmask_b32_e64 v11, v1, v7, s[0:1]
	v_mul_lo_u32 v12, v11, s14
	v_mul_lo_u32 v13, v10, s15
	v_mad_u64_u32 v[10:11], s[8:9], v10, s14, 0
	v_cndmask_b32_e64 v7, v7, v1, s[0:1]
	v_cndmask_b32_e64 v6, v6, v0, s[0:1]
	v_add3_u32 v11, v11, v13, v12
	v_lshlrev_b64 v[10:11], 3, v[10:11]
	v_mov_b32_e32 v12, s13
	v_add_co_u32_e32 v10, vcc, s12, v10
	v_lshlrev_b64 v[6:7], 3, v[6:7]
	v_addc_co_u32_e32 v11, vcc, v12, v11, vcc
	v_add_co_u32_e32 v6, vcc, v10, v6
	v_addc_co_u32_e32 v7, vcc, v11, v7, vcc
	s_waitcnt vmcnt(0)
	global_store_dwordx2 v[6:7], v[8:9], off
	s_branch .LBB16_3
.LBB16_6:
	s_endpgm
	.section	.rodata,"a",@progbits
	.p2align	6, 0x0
	.amdhsa_kernel _ZN9rocsparseL16ell2dense_kernelILi16ELi32El21rocsparse_complex_numIfEEEv21rocsparse_index_base_T1_S4_S4_PKT2_PKS4_PS5_l16rocsparse_order_
		.amdhsa_group_segment_fixed_size 0
		.amdhsa_private_segment_fixed_size 0
		.amdhsa_kernarg_size 68
		.amdhsa_user_sgpr_count 6
		.amdhsa_user_sgpr_private_segment_buffer 1
		.amdhsa_user_sgpr_dispatch_ptr 0
		.amdhsa_user_sgpr_queue_ptr 0
		.amdhsa_user_sgpr_kernarg_segment_ptr 1
		.amdhsa_user_sgpr_dispatch_id 0
		.amdhsa_user_sgpr_flat_scratch_init 0
		.amdhsa_user_sgpr_private_segment_size 0
		.amdhsa_uses_dynamic_stack 0
		.amdhsa_system_sgpr_private_segment_wavefront_offset 0
		.amdhsa_system_sgpr_workgroup_id_x 1
		.amdhsa_system_sgpr_workgroup_id_y 0
		.amdhsa_system_sgpr_workgroup_id_z 0
		.amdhsa_system_sgpr_workgroup_info 0
		.amdhsa_system_vgpr_workitem_id 0
		.amdhsa_next_free_vgpr 14
		.amdhsa_next_free_sgpr 20
		.amdhsa_reserve_vcc 1
		.amdhsa_reserve_flat_scratch 0
		.amdhsa_float_round_mode_32 0
		.amdhsa_float_round_mode_16_64 0
		.amdhsa_float_denorm_mode_32 3
		.amdhsa_float_denorm_mode_16_64 3
		.amdhsa_dx10_clamp 1
		.amdhsa_ieee_mode 1
		.amdhsa_fp16_overflow 0
		.amdhsa_exception_fp_ieee_invalid_op 0
		.amdhsa_exception_fp_denorm_src 0
		.amdhsa_exception_fp_ieee_div_zero 0
		.amdhsa_exception_fp_ieee_overflow 0
		.amdhsa_exception_fp_ieee_underflow 0
		.amdhsa_exception_fp_ieee_inexact 0
		.amdhsa_exception_int_div_zero 0
	.end_amdhsa_kernel
	.section	.text._ZN9rocsparseL16ell2dense_kernelILi16ELi32El21rocsparse_complex_numIfEEEv21rocsparse_index_base_T1_S4_S4_PKT2_PKS4_PS5_l16rocsparse_order_,"axG",@progbits,_ZN9rocsparseL16ell2dense_kernelILi16ELi32El21rocsparse_complex_numIfEEEv21rocsparse_index_base_T1_S4_S4_PKT2_PKS4_PS5_l16rocsparse_order_,comdat
.Lfunc_end16:
	.size	_ZN9rocsparseL16ell2dense_kernelILi16ELi32El21rocsparse_complex_numIfEEEv21rocsparse_index_base_T1_S4_S4_PKT2_PKS4_PS5_l16rocsparse_order_, .Lfunc_end16-_ZN9rocsparseL16ell2dense_kernelILi16ELi32El21rocsparse_complex_numIfEEEv21rocsparse_index_base_T1_S4_S4_PKT2_PKS4_PS5_l16rocsparse_order_
                                        ; -- End function
	.set _ZN9rocsparseL16ell2dense_kernelILi16ELi32El21rocsparse_complex_numIfEEEv21rocsparse_index_base_T1_S4_S4_PKT2_PKS4_PS5_l16rocsparse_order_.num_vgpr, 14
	.set _ZN9rocsparseL16ell2dense_kernelILi16ELi32El21rocsparse_complex_numIfEEEv21rocsparse_index_base_T1_S4_S4_PKT2_PKS4_PS5_l16rocsparse_order_.num_agpr, 0
	.set _ZN9rocsparseL16ell2dense_kernelILi16ELi32El21rocsparse_complex_numIfEEEv21rocsparse_index_base_T1_S4_S4_PKT2_PKS4_PS5_l16rocsparse_order_.numbered_sgpr, 20
	.set _ZN9rocsparseL16ell2dense_kernelILi16ELi32El21rocsparse_complex_numIfEEEv21rocsparse_index_base_T1_S4_S4_PKT2_PKS4_PS5_l16rocsparse_order_.num_named_barrier, 0
	.set _ZN9rocsparseL16ell2dense_kernelILi16ELi32El21rocsparse_complex_numIfEEEv21rocsparse_index_base_T1_S4_S4_PKT2_PKS4_PS5_l16rocsparse_order_.private_seg_size, 0
	.set _ZN9rocsparseL16ell2dense_kernelILi16ELi32El21rocsparse_complex_numIfEEEv21rocsparse_index_base_T1_S4_S4_PKT2_PKS4_PS5_l16rocsparse_order_.uses_vcc, 1
	.set _ZN9rocsparseL16ell2dense_kernelILi16ELi32El21rocsparse_complex_numIfEEEv21rocsparse_index_base_T1_S4_S4_PKT2_PKS4_PS5_l16rocsparse_order_.uses_flat_scratch, 0
	.set _ZN9rocsparseL16ell2dense_kernelILi16ELi32El21rocsparse_complex_numIfEEEv21rocsparse_index_base_T1_S4_S4_PKT2_PKS4_PS5_l16rocsparse_order_.has_dyn_sized_stack, 0
	.set _ZN9rocsparseL16ell2dense_kernelILi16ELi32El21rocsparse_complex_numIfEEEv21rocsparse_index_base_T1_S4_S4_PKT2_PKS4_PS5_l16rocsparse_order_.has_recursion, 0
	.set _ZN9rocsparseL16ell2dense_kernelILi16ELi32El21rocsparse_complex_numIfEEEv21rocsparse_index_base_T1_S4_S4_PKT2_PKS4_PS5_l16rocsparse_order_.has_indirect_call, 0
	.section	.AMDGPU.csdata,"",@progbits
; Kernel info:
; codeLenInByte = 392
; TotalNumSgprs: 24
; NumVgprs: 14
; ScratchSize: 0
; MemoryBound: 0
; FloatMode: 240
; IeeeMode: 1
; LDSByteSize: 0 bytes/workgroup (compile time only)
; SGPRBlocks: 2
; VGPRBlocks: 3
; NumSGPRsForWavesPerEU: 24
; NumVGPRsForWavesPerEU: 14
; Occupancy: 10
; WaveLimiterHint : 1
; COMPUTE_PGM_RSRC2:SCRATCH_EN: 0
; COMPUTE_PGM_RSRC2:USER_SGPR: 6
; COMPUTE_PGM_RSRC2:TRAP_HANDLER: 0
; COMPUTE_PGM_RSRC2:TGID_X_EN: 1
; COMPUTE_PGM_RSRC2:TGID_Y_EN: 0
; COMPUTE_PGM_RSRC2:TGID_Z_EN: 0
; COMPUTE_PGM_RSRC2:TIDIG_COMP_CNT: 0
	.section	.text._ZN9rocsparseL16ell2dense_kernelILi16ELi64El21rocsparse_complex_numIfEEEv21rocsparse_index_base_T1_S4_S4_PKT2_PKS4_PS5_l16rocsparse_order_,"axG",@progbits,_ZN9rocsparseL16ell2dense_kernelILi16ELi64El21rocsparse_complex_numIfEEEv21rocsparse_index_base_T1_S4_S4_PKT2_PKS4_PS5_l16rocsparse_order_,comdat
	.globl	_ZN9rocsparseL16ell2dense_kernelILi16ELi64El21rocsparse_complex_numIfEEEv21rocsparse_index_base_T1_S4_S4_PKT2_PKS4_PS5_l16rocsparse_order_ ; -- Begin function _ZN9rocsparseL16ell2dense_kernelILi16ELi64El21rocsparse_complex_numIfEEEv21rocsparse_index_base_T1_S4_S4_PKT2_PKS4_PS5_l16rocsparse_order_
	.p2align	8
	.type	_ZN9rocsparseL16ell2dense_kernelILi16ELi64El21rocsparse_complex_numIfEEEv21rocsparse_index_base_T1_S4_S4_PKT2_PKS4_PS5_l16rocsparse_order_,@function
_ZN9rocsparseL16ell2dense_kernelILi16ELi64El21rocsparse_complex_numIfEEEv21rocsparse_index_base_T1_S4_S4_PKT2_PKS4_PS5_l16rocsparse_order_: ; @_ZN9rocsparseL16ell2dense_kernelILi16ELi64El21rocsparse_complex_numIfEEEv21rocsparse_index_base_T1_S4_S4_PKT2_PKS4_PS5_l16rocsparse_order_
; %bb.0:
	s_load_dwordx2 s[0:1], s[4:5], 0x18
	v_lshrrev_b32_e32 v1, 6, v0
	v_lshl_or_b32 v2, s6, 4, v1
	v_mov_b32_e32 v1, 0
	v_mov_b32_e32 v3, v1
	s_waitcnt lgkmcnt(0)
	v_cmp_gt_i64_e32 vcc, s[0:1], v[2:3]
	s_and_saveexec_b64 s[0:1], vcc
	s_cbranch_execz .LBB17_6
; %bb.1:
	s_load_dwordx4 s[16:19], s[4:5], 0x8
	v_and_b32_e32 v0, 63, v0
	s_waitcnt lgkmcnt(0)
	v_cmp_gt_i64_e32 vcc, s[16:17], v[0:1]
	s_and_b64 exec, exec, vcc
	s_cbranch_execz .LBB17_6
; %bb.2:
	v_mad_u64_u32 v[3:4], s[0:1], s16, v2, v[0:1]
	s_load_dwordx8 s[8:15], s[4:5], 0x20
	s_load_dword s2, s[4:5], 0x40
	s_load_dword s6, s[4:5], 0x0
	v_mad_u64_u32 v[4:5], s[0:1], s17, v2, v[4:5]
	s_waitcnt lgkmcnt(0)
	v_mov_b32_e32 v6, s9
	s_cmp_eq_u32 s2, 1
	v_lshlrev_b64 v[4:5], 3, v[3:4]
	v_mov_b32_e32 v3, s11
	v_add_co_u32_e32 v2, vcc, s10, v4
	v_addc_co_u32_e32 v3, vcc, v3, v5, vcc
	v_add_co_u32_e32 v4, vcc, s8, v4
	s_cselect_b64 s[0:1], -1, 0
	v_addc_co_u32_e32 v5, vcc, v6, v5, vcc
	s_mov_b64 s[4:5], 0
	s_branch .LBB17_4
.LBB17_3:                               ;   in Loop: Header=BB17_4 Depth=1
	s_or_b64 exec, exec, s[2:3]
	v_add_co_u32_e32 v0, vcc, 64, v0
	v_addc_co_u32_e32 v1, vcc, 0, v1, vcc
	v_add_co_u32_e32 v2, vcc, 0x200, v2
	v_addc_co_u32_e32 v3, vcc, 0, v3, vcc
	v_cmp_le_i64_e64 s[2:3], s[16:17], v[0:1]
	v_add_co_u32_e32 v4, vcc, 0x200, v4
	s_or_b64 s[4:5], s[2:3], s[4:5]
	v_addc_co_u32_e32 v5, vcc, 0, v5, vcc
	s_andn2_b64 exec, exec, s[4:5]
	s_cbranch_execz .LBB17_6
.LBB17_4:                               ; =>This Inner Loop Header: Depth=1
	global_load_dwordx2 v[6:7], v[2:3], off
	s_waitcnt vmcnt(0)
	v_subrev_co_u32_e32 v6, vcc, s6, v6
	v_subbrev_co_u32_e32 v7, vcc, 0, v7, vcc
	v_cmp_lt_i64_e32 vcc, -1, v[6:7]
	v_cmp_gt_i64_e64 s[2:3], s[18:19], v[6:7]
	s_and_b64 s[8:9], vcc, s[2:3]
	s_and_saveexec_b64 s[2:3], s[8:9]
	s_cbranch_execz .LBB17_3
; %bb.5:                                ;   in Loop: Header=BB17_4 Depth=1
	global_load_dwordx2 v[8:9], v[4:5], off
	v_cndmask_b32_e64 v10, v0, v6, s[0:1]
	v_cndmask_b32_e64 v11, v1, v7, s[0:1]
	v_mul_lo_u32 v12, v11, s14
	v_mul_lo_u32 v13, v10, s15
	v_mad_u64_u32 v[10:11], s[8:9], v10, s14, 0
	v_cndmask_b32_e64 v7, v7, v1, s[0:1]
	v_cndmask_b32_e64 v6, v6, v0, s[0:1]
	v_add3_u32 v11, v11, v13, v12
	v_lshlrev_b64 v[10:11], 3, v[10:11]
	v_mov_b32_e32 v12, s13
	v_add_co_u32_e32 v10, vcc, s12, v10
	v_lshlrev_b64 v[6:7], 3, v[6:7]
	v_addc_co_u32_e32 v11, vcc, v12, v11, vcc
	v_add_co_u32_e32 v6, vcc, v10, v6
	v_addc_co_u32_e32 v7, vcc, v11, v7, vcc
	s_waitcnt vmcnt(0)
	global_store_dwordx2 v[6:7], v[8:9], off
	s_branch .LBB17_3
.LBB17_6:
	s_endpgm
	.section	.rodata,"a",@progbits
	.p2align	6, 0x0
	.amdhsa_kernel _ZN9rocsparseL16ell2dense_kernelILi16ELi64El21rocsparse_complex_numIfEEEv21rocsparse_index_base_T1_S4_S4_PKT2_PKS4_PS5_l16rocsparse_order_
		.amdhsa_group_segment_fixed_size 0
		.amdhsa_private_segment_fixed_size 0
		.amdhsa_kernarg_size 68
		.amdhsa_user_sgpr_count 6
		.amdhsa_user_sgpr_private_segment_buffer 1
		.amdhsa_user_sgpr_dispatch_ptr 0
		.amdhsa_user_sgpr_queue_ptr 0
		.amdhsa_user_sgpr_kernarg_segment_ptr 1
		.amdhsa_user_sgpr_dispatch_id 0
		.amdhsa_user_sgpr_flat_scratch_init 0
		.amdhsa_user_sgpr_private_segment_size 0
		.amdhsa_uses_dynamic_stack 0
		.amdhsa_system_sgpr_private_segment_wavefront_offset 0
		.amdhsa_system_sgpr_workgroup_id_x 1
		.amdhsa_system_sgpr_workgroup_id_y 0
		.amdhsa_system_sgpr_workgroup_id_z 0
		.amdhsa_system_sgpr_workgroup_info 0
		.amdhsa_system_vgpr_workitem_id 0
		.amdhsa_next_free_vgpr 14
		.amdhsa_next_free_sgpr 20
		.amdhsa_reserve_vcc 1
		.amdhsa_reserve_flat_scratch 0
		.amdhsa_float_round_mode_32 0
		.amdhsa_float_round_mode_16_64 0
		.amdhsa_float_denorm_mode_32 3
		.amdhsa_float_denorm_mode_16_64 3
		.amdhsa_dx10_clamp 1
		.amdhsa_ieee_mode 1
		.amdhsa_fp16_overflow 0
		.amdhsa_exception_fp_ieee_invalid_op 0
		.amdhsa_exception_fp_denorm_src 0
		.amdhsa_exception_fp_ieee_div_zero 0
		.amdhsa_exception_fp_ieee_overflow 0
		.amdhsa_exception_fp_ieee_underflow 0
		.amdhsa_exception_fp_ieee_inexact 0
		.amdhsa_exception_int_div_zero 0
	.end_amdhsa_kernel
	.section	.text._ZN9rocsparseL16ell2dense_kernelILi16ELi64El21rocsparse_complex_numIfEEEv21rocsparse_index_base_T1_S4_S4_PKT2_PKS4_PS5_l16rocsparse_order_,"axG",@progbits,_ZN9rocsparseL16ell2dense_kernelILi16ELi64El21rocsparse_complex_numIfEEEv21rocsparse_index_base_T1_S4_S4_PKT2_PKS4_PS5_l16rocsparse_order_,comdat
.Lfunc_end17:
	.size	_ZN9rocsparseL16ell2dense_kernelILi16ELi64El21rocsparse_complex_numIfEEEv21rocsparse_index_base_T1_S4_S4_PKT2_PKS4_PS5_l16rocsparse_order_, .Lfunc_end17-_ZN9rocsparseL16ell2dense_kernelILi16ELi64El21rocsparse_complex_numIfEEEv21rocsparse_index_base_T1_S4_S4_PKT2_PKS4_PS5_l16rocsparse_order_
                                        ; -- End function
	.set _ZN9rocsparseL16ell2dense_kernelILi16ELi64El21rocsparse_complex_numIfEEEv21rocsparse_index_base_T1_S4_S4_PKT2_PKS4_PS5_l16rocsparse_order_.num_vgpr, 14
	.set _ZN9rocsparseL16ell2dense_kernelILi16ELi64El21rocsparse_complex_numIfEEEv21rocsparse_index_base_T1_S4_S4_PKT2_PKS4_PS5_l16rocsparse_order_.num_agpr, 0
	.set _ZN9rocsparseL16ell2dense_kernelILi16ELi64El21rocsparse_complex_numIfEEEv21rocsparse_index_base_T1_S4_S4_PKT2_PKS4_PS5_l16rocsparse_order_.numbered_sgpr, 20
	.set _ZN9rocsparseL16ell2dense_kernelILi16ELi64El21rocsparse_complex_numIfEEEv21rocsparse_index_base_T1_S4_S4_PKT2_PKS4_PS5_l16rocsparse_order_.num_named_barrier, 0
	.set _ZN9rocsparseL16ell2dense_kernelILi16ELi64El21rocsparse_complex_numIfEEEv21rocsparse_index_base_T1_S4_S4_PKT2_PKS4_PS5_l16rocsparse_order_.private_seg_size, 0
	.set _ZN9rocsparseL16ell2dense_kernelILi16ELi64El21rocsparse_complex_numIfEEEv21rocsparse_index_base_T1_S4_S4_PKT2_PKS4_PS5_l16rocsparse_order_.uses_vcc, 1
	.set _ZN9rocsparseL16ell2dense_kernelILi16ELi64El21rocsparse_complex_numIfEEEv21rocsparse_index_base_T1_S4_S4_PKT2_PKS4_PS5_l16rocsparse_order_.uses_flat_scratch, 0
	.set _ZN9rocsparseL16ell2dense_kernelILi16ELi64El21rocsparse_complex_numIfEEEv21rocsparse_index_base_T1_S4_S4_PKT2_PKS4_PS5_l16rocsparse_order_.has_dyn_sized_stack, 0
	.set _ZN9rocsparseL16ell2dense_kernelILi16ELi64El21rocsparse_complex_numIfEEEv21rocsparse_index_base_T1_S4_S4_PKT2_PKS4_PS5_l16rocsparse_order_.has_recursion, 0
	.set _ZN9rocsparseL16ell2dense_kernelILi16ELi64El21rocsparse_complex_numIfEEEv21rocsparse_index_base_T1_S4_S4_PKT2_PKS4_PS5_l16rocsparse_order_.has_indirect_call, 0
	.section	.AMDGPU.csdata,"",@progbits
; Kernel info:
; codeLenInByte = 392
; TotalNumSgprs: 24
; NumVgprs: 14
; ScratchSize: 0
; MemoryBound: 0
; FloatMode: 240
; IeeeMode: 1
; LDSByteSize: 0 bytes/workgroup (compile time only)
; SGPRBlocks: 2
; VGPRBlocks: 3
; NumSGPRsForWavesPerEU: 24
; NumVGPRsForWavesPerEU: 14
; Occupancy: 10
; WaveLimiterHint : 1
; COMPUTE_PGM_RSRC2:SCRATCH_EN: 0
; COMPUTE_PGM_RSRC2:USER_SGPR: 6
; COMPUTE_PGM_RSRC2:TRAP_HANDLER: 0
; COMPUTE_PGM_RSRC2:TGID_X_EN: 1
; COMPUTE_PGM_RSRC2:TGID_Y_EN: 0
; COMPUTE_PGM_RSRC2:TGID_Z_EN: 0
; COMPUTE_PGM_RSRC2:TIDIG_COMP_CNT: 0
	.section	.text._ZN9rocsparseL16ell2dense_kernelILi16ELi32El21rocsparse_complex_numIdEEEv21rocsparse_index_base_T1_S4_S4_PKT2_PKS4_PS5_l16rocsparse_order_,"axG",@progbits,_ZN9rocsparseL16ell2dense_kernelILi16ELi32El21rocsparse_complex_numIdEEEv21rocsparse_index_base_T1_S4_S4_PKT2_PKS4_PS5_l16rocsparse_order_,comdat
	.globl	_ZN9rocsparseL16ell2dense_kernelILi16ELi32El21rocsparse_complex_numIdEEEv21rocsparse_index_base_T1_S4_S4_PKT2_PKS4_PS5_l16rocsparse_order_ ; -- Begin function _ZN9rocsparseL16ell2dense_kernelILi16ELi32El21rocsparse_complex_numIdEEEv21rocsparse_index_base_T1_S4_S4_PKT2_PKS4_PS5_l16rocsparse_order_
	.p2align	8
	.type	_ZN9rocsparseL16ell2dense_kernelILi16ELi32El21rocsparse_complex_numIdEEEv21rocsparse_index_base_T1_S4_S4_PKT2_PKS4_PS5_l16rocsparse_order_,@function
_ZN9rocsparseL16ell2dense_kernelILi16ELi32El21rocsparse_complex_numIdEEEv21rocsparse_index_base_T1_S4_S4_PKT2_PKS4_PS5_l16rocsparse_order_: ; @_ZN9rocsparseL16ell2dense_kernelILi16ELi32El21rocsparse_complex_numIdEEEv21rocsparse_index_base_T1_S4_S4_PKT2_PKS4_PS5_l16rocsparse_order_
; %bb.0:
	s_load_dwordx2 s[0:1], s[4:5], 0x18
	v_lshrrev_b32_e32 v1, 5, v0
	v_lshl_or_b32 v2, s6, 4, v1
	v_mov_b32_e32 v1, 0
	v_mov_b32_e32 v3, v1
	s_waitcnt lgkmcnt(0)
	v_cmp_gt_i64_e32 vcc, s[0:1], v[2:3]
	s_and_saveexec_b64 s[0:1], vcc
	s_cbranch_execz .LBB18_6
; %bb.1:
	s_load_dwordx4 s[16:19], s[4:5], 0x8
	v_and_b32_e32 v0, 31, v0
	s_waitcnt lgkmcnt(0)
	v_cmp_gt_i64_e32 vcc, s[16:17], v[0:1]
	s_and_b64 exec, exec, vcc
	s_cbranch_execz .LBB18_6
; %bb.2:
	v_mad_u64_u32 v[4:5], s[0:1], s16, v2, v[0:1]
	s_load_dwordx8 s[8:15], s[4:5], 0x20
	s_load_dword s2, s[4:5], 0x40
	s_load_dword s6, s[4:5], 0x0
	v_mov_b32_e32 v3, v5
	v_mad_u64_u32 v[2:3], s[0:1], s17, v2, v[3:4]
	s_waitcnt lgkmcnt(0)
	v_mov_b32_e32 v6, s11
	s_cmp_eq_u32 s2, 1
	v_mov_b32_e32 v5, v2
	v_lshlrev_b64 v[2:3], 3, v[4:5]
	v_lshlrev_b64 v[4:5], 4, v[4:5]
	v_add_co_u32_e32 v2, vcc, s10, v2
	v_addc_co_u32_e32 v3, vcc, v6, v3, vcc
	v_mov_b32_e32 v6, s9
	v_add_co_u32_e32 v4, vcc, s8, v4
	s_cselect_b64 s[0:1], -1, 0
	v_addc_co_u32_e32 v5, vcc, v6, v5, vcc
	s_mov_b64 s[4:5], 0
	s_branch .LBB18_4
.LBB18_3:                               ;   in Loop: Header=BB18_4 Depth=1
	s_or_b64 exec, exec, s[2:3]
	v_add_co_u32_e32 v0, vcc, 32, v0
	v_addc_co_u32_e32 v1, vcc, 0, v1, vcc
	v_add_co_u32_e32 v2, vcc, 0x100, v2
	v_addc_co_u32_e32 v3, vcc, 0, v3, vcc
	v_cmp_le_i64_e64 s[2:3], s[16:17], v[0:1]
	v_add_co_u32_e32 v4, vcc, 0x200, v4
	s_or_b64 s[4:5], s[2:3], s[4:5]
	v_addc_co_u32_e32 v5, vcc, 0, v5, vcc
	s_andn2_b64 exec, exec, s[4:5]
	s_cbranch_execz .LBB18_6
.LBB18_4:                               ; =>This Inner Loop Header: Depth=1
	global_load_dwordx2 v[6:7], v[2:3], off
	s_waitcnt vmcnt(0)
	v_subrev_co_u32_e32 v6, vcc, s6, v6
	v_subbrev_co_u32_e32 v7, vcc, 0, v7, vcc
	v_cmp_lt_i64_e32 vcc, -1, v[6:7]
	v_cmp_gt_i64_e64 s[2:3], s[18:19], v[6:7]
	s_and_b64 s[8:9], vcc, s[2:3]
	s_and_saveexec_b64 s[2:3], s[8:9]
	s_cbranch_execz .LBB18_3
; %bb.5:                                ;   in Loop: Header=BB18_4 Depth=1
	global_load_dwordx4 v[8:11], v[4:5], off
	v_cndmask_b32_e64 v12, v0, v6, s[0:1]
	v_cndmask_b32_e64 v13, v1, v7, s[0:1]
	v_mul_lo_u32 v14, v13, s14
	v_mul_lo_u32 v15, v12, s15
	v_mad_u64_u32 v[12:13], s[8:9], v12, s14, 0
	v_cndmask_b32_e64 v7, v7, v1, s[0:1]
	v_cndmask_b32_e64 v6, v6, v0, s[0:1]
	v_add3_u32 v13, v13, v15, v14
	v_lshlrev_b64 v[12:13], 4, v[12:13]
	v_mov_b32_e32 v14, s13
	v_add_co_u32_e32 v12, vcc, s12, v12
	v_lshlrev_b64 v[6:7], 4, v[6:7]
	v_addc_co_u32_e32 v13, vcc, v14, v13, vcc
	v_add_co_u32_e32 v6, vcc, v12, v6
	v_addc_co_u32_e32 v7, vcc, v13, v7, vcc
	s_waitcnt vmcnt(0)
	global_store_dwordx4 v[6:7], v[8:11], off
	s_branch .LBB18_3
.LBB18_6:
	s_endpgm
	.section	.rodata,"a",@progbits
	.p2align	6, 0x0
	.amdhsa_kernel _ZN9rocsparseL16ell2dense_kernelILi16ELi32El21rocsparse_complex_numIdEEEv21rocsparse_index_base_T1_S4_S4_PKT2_PKS4_PS5_l16rocsparse_order_
		.amdhsa_group_segment_fixed_size 0
		.amdhsa_private_segment_fixed_size 0
		.amdhsa_kernarg_size 68
		.amdhsa_user_sgpr_count 6
		.amdhsa_user_sgpr_private_segment_buffer 1
		.amdhsa_user_sgpr_dispatch_ptr 0
		.amdhsa_user_sgpr_queue_ptr 0
		.amdhsa_user_sgpr_kernarg_segment_ptr 1
		.amdhsa_user_sgpr_dispatch_id 0
		.amdhsa_user_sgpr_flat_scratch_init 0
		.amdhsa_user_sgpr_private_segment_size 0
		.amdhsa_uses_dynamic_stack 0
		.amdhsa_system_sgpr_private_segment_wavefront_offset 0
		.amdhsa_system_sgpr_workgroup_id_x 1
		.amdhsa_system_sgpr_workgroup_id_y 0
		.amdhsa_system_sgpr_workgroup_id_z 0
		.amdhsa_system_sgpr_workgroup_info 0
		.amdhsa_system_vgpr_workitem_id 0
		.amdhsa_next_free_vgpr 16
		.amdhsa_next_free_sgpr 20
		.amdhsa_reserve_vcc 1
		.amdhsa_reserve_flat_scratch 0
		.amdhsa_float_round_mode_32 0
		.amdhsa_float_round_mode_16_64 0
		.amdhsa_float_denorm_mode_32 3
		.amdhsa_float_denorm_mode_16_64 3
		.amdhsa_dx10_clamp 1
		.amdhsa_ieee_mode 1
		.amdhsa_fp16_overflow 0
		.amdhsa_exception_fp_ieee_invalid_op 0
		.amdhsa_exception_fp_denorm_src 0
		.amdhsa_exception_fp_ieee_div_zero 0
		.amdhsa_exception_fp_ieee_overflow 0
		.amdhsa_exception_fp_ieee_underflow 0
		.amdhsa_exception_fp_ieee_inexact 0
		.amdhsa_exception_int_div_zero 0
	.end_amdhsa_kernel
	.section	.text._ZN9rocsparseL16ell2dense_kernelILi16ELi32El21rocsparse_complex_numIdEEEv21rocsparse_index_base_T1_S4_S4_PKT2_PKS4_PS5_l16rocsparse_order_,"axG",@progbits,_ZN9rocsparseL16ell2dense_kernelILi16ELi32El21rocsparse_complex_numIdEEEv21rocsparse_index_base_T1_S4_S4_PKT2_PKS4_PS5_l16rocsparse_order_,comdat
.Lfunc_end18:
	.size	_ZN9rocsparseL16ell2dense_kernelILi16ELi32El21rocsparse_complex_numIdEEEv21rocsparse_index_base_T1_S4_S4_PKT2_PKS4_PS5_l16rocsparse_order_, .Lfunc_end18-_ZN9rocsparseL16ell2dense_kernelILi16ELi32El21rocsparse_complex_numIdEEEv21rocsparse_index_base_T1_S4_S4_PKT2_PKS4_PS5_l16rocsparse_order_
                                        ; -- End function
	.set _ZN9rocsparseL16ell2dense_kernelILi16ELi32El21rocsparse_complex_numIdEEEv21rocsparse_index_base_T1_S4_S4_PKT2_PKS4_PS5_l16rocsparse_order_.num_vgpr, 16
	.set _ZN9rocsparseL16ell2dense_kernelILi16ELi32El21rocsparse_complex_numIdEEEv21rocsparse_index_base_T1_S4_S4_PKT2_PKS4_PS5_l16rocsparse_order_.num_agpr, 0
	.set _ZN9rocsparseL16ell2dense_kernelILi16ELi32El21rocsparse_complex_numIdEEEv21rocsparse_index_base_T1_S4_S4_PKT2_PKS4_PS5_l16rocsparse_order_.numbered_sgpr, 20
	.set _ZN9rocsparseL16ell2dense_kernelILi16ELi32El21rocsparse_complex_numIdEEEv21rocsparse_index_base_T1_S4_S4_PKT2_PKS4_PS5_l16rocsparse_order_.num_named_barrier, 0
	.set _ZN9rocsparseL16ell2dense_kernelILi16ELi32El21rocsparse_complex_numIdEEEv21rocsparse_index_base_T1_S4_S4_PKT2_PKS4_PS5_l16rocsparse_order_.private_seg_size, 0
	.set _ZN9rocsparseL16ell2dense_kernelILi16ELi32El21rocsparse_complex_numIdEEEv21rocsparse_index_base_T1_S4_S4_PKT2_PKS4_PS5_l16rocsparse_order_.uses_vcc, 1
	.set _ZN9rocsparseL16ell2dense_kernelILi16ELi32El21rocsparse_complex_numIdEEEv21rocsparse_index_base_T1_S4_S4_PKT2_PKS4_PS5_l16rocsparse_order_.uses_flat_scratch, 0
	.set _ZN9rocsparseL16ell2dense_kernelILi16ELi32El21rocsparse_complex_numIdEEEv21rocsparse_index_base_T1_S4_S4_PKT2_PKS4_PS5_l16rocsparse_order_.has_dyn_sized_stack, 0
	.set _ZN9rocsparseL16ell2dense_kernelILi16ELi32El21rocsparse_complex_numIdEEEv21rocsparse_index_base_T1_S4_S4_PKT2_PKS4_PS5_l16rocsparse_order_.has_recursion, 0
	.set _ZN9rocsparseL16ell2dense_kernelILi16ELi32El21rocsparse_complex_numIdEEEv21rocsparse_index_base_T1_S4_S4_PKT2_PKS4_PS5_l16rocsparse_order_.has_indirect_call, 0
	.section	.AMDGPU.csdata,"",@progbits
; Kernel info:
; codeLenInByte = 408
; TotalNumSgprs: 24
; NumVgprs: 16
; ScratchSize: 0
; MemoryBound: 0
; FloatMode: 240
; IeeeMode: 1
; LDSByteSize: 0 bytes/workgroup (compile time only)
; SGPRBlocks: 2
; VGPRBlocks: 3
; NumSGPRsForWavesPerEU: 24
; NumVGPRsForWavesPerEU: 16
; Occupancy: 10
; WaveLimiterHint : 1
; COMPUTE_PGM_RSRC2:SCRATCH_EN: 0
; COMPUTE_PGM_RSRC2:USER_SGPR: 6
; COMPUTE_PGM_RSRC2:TRAP_HANDLER: 0
; COMPUTE_PGM_RSRC2:TGID_X_EN: 1
; COMPUTE_PGM_RSRC2:TGID_Y_EN: 0
; COMPUTE_PGM_RSRC2:TGID_Z_EN: 0
; COMPUTE_PGM_RSRC2:TIDIG_COMP_CNT: 0
	.section	.text._ZN9rocsparseL16ell2dense_kernelILi16ELi64El21rocsparse_complex_numIdEEEv21rocsparse_index_base_T1_S4_S4_PKT2_PKS4_PS5_l16rocsparse_order_,"axG",@progbits,_ZN9rocsparseL16ell2dense_kernelILi16ELi64El21rocsparse_complex_numIdEEEv21rocsparse_index_base_T1_S4_S4_PKT2_PKS4_PS5_l16rocsparse_order_,comdat
	.globl	_ZN9rocsparseL16ell2dense_kernelILi16ELi64El21rocsparse_complex_numIdEEEv21rocsparse_index_base_T1_S4_S4_PKT2_PKS4_PS5_l16rocsparse_order_ ; -- Begin function _ZN9rocsparseL16ell2dense_kernelILi16ELi64El21rocsparse_complex_numIdEEEv21rocsparse_index_base_T1_S4_S4_PKT2_PKS4_PS5_l16rocsparse_order_
	.p2align	8
	.type	_ZN9rocsparseL16ell2dense_kernelILi16ELi64El21rocsparse_complex_numIdEEEv21rocsparse_index_base_T1_S4_S4_PKT2_PKS4_PS5_l16rocsparse_order_,@function
_ZN9rocsparseL16ell2dense_kernelILi16ELi64El21rocsparse_complex_numIdEEEv21rocsparse_index_base_T1_S4_S4_PKT2_PKS4_PS5_l16rocsparse_order_: ; @_ZN9rocsparseL16ell2dense_kernelILi16ELi64El21rocsparse_complex_numIdEEEv21rocsparse_index_base_T1_S4_S4_PKT2_PKS4_PS5_l16rocsparse_order_
; %bb.0:
	s_load_dwordx2 s[0:1], s[4:5], 0x18
	v_lshrrev_b32_e32 v1, 6, v0
	v_lshl_or_b32 v2, s6, 4, v1
	v_mov_b32_e32 v1, 0
	v_mov_b32_e32 v3, v1
	s_waitcnt lgkmcnt(0)
	v_cmp_gt_i64_e32 vcc, s[0:1], v[2:3]
	s_and_saveexec_b64 s[0:1], vcc
	s_cbranch_execz .LBB19_6
; %bb.1:
	s_load_dwordx4 s[16:19], s[4:5], 0x8
	v_and_b32_e32 v0, 63, v0
	s_waitcnt lgkmcnt(0)
	v_cmp_gt_i64_e32 vcc, s[16:17], v[0:1]
	s_and_b64 exec, exec, vcc
	s_cbranch_execz .LBB19_6
; %bb.2:
	v_mad_u64_u32 v[4:5], s[0:1], s16, v2, v[0:1]
	s_load_dwordx8 s[8:15], s[4:5], 0x20
	s_load_dword s2, s[4:5], 0x40
	s_load_dword s6, s[4:5], 0x0
	v_mov_b32_e32 v3, v5
	v_mad_u64_u32 v[2:3], s[0:1], s17, v2, v[3:4]
	s_waitcnt lgkmcnt(0)
	v_mov_b32_e32 v6, s11
	s_cmp_eq_u32 s2, 1
	v_mov_b32_e32 v5, v2
	v_lshlrev_b64 v[2:3], 3, v[4:5]
	v_lshlrev_b64 v[4:5], 4, v[4:5]
	v_add_co_u32_e32 v2, vcc, s10, v2
	v_addc_co_u32_e32 v3, vcc, v6, v3, vcc
	v_mov_b32_e32 v6, s9
	v_add_co_u32_e32 v4, vcc, s8, v4
	s_cselect_b64 s[0:1], -1, 0
	v_addc_co_u32_e32 v5, vcc, v6, v5, vcc
	s_mov_b64 s[4:5], 0
	s_branch .LBB19_4
.LBB19_3:                               ;   in Loop: Header=BB19_4 Depth=1
	s_or_b64 exec, exec, s[2:3]
	v_add_co_u32_e32 v0, vcc, 64, v0
	v_addc_co_u32_e32 v1, vcc, 0, v1, vcc
	v_add_co_u32_e32 v2, vcc, 0x200, v2
	v_addc_co_u32_e32 v3, vcc, 0, v3, vcc
	v_cmp_le_i64_e64 s[2:3], s[16:17], v[0:1]
	v_add_co_u32_e32 v4, vcc, 0x400, v4
	s_or_b64 s[4:5], s[2:3], s[4:5]
	v_addc_co_u32_e32 v5, vcc, 0, v5, vcc
	s_andn2_b64 exec, exec, s[4:5]
	s_cbranch_execz .LBB19_6
.LBB19_4:                               ; =>This Inner Loop Header: Depth=1
	global_load_dwordx2 v[6:7], v[2:3], off
	s_waitcnt vmcnt(0)
	v_subrev_co_u32_e32 v6, vcc, s6, v6
	v_subbrev_co_u32_e32 v7, vcc, 0, v7, vcc
	v_cmp_lt_i64_e32 vcc, -1, v[6:7]
	v_cmp_gt_i64_e64 s[2:3], s[18:19], v[6:7]
	s_and_b64 s[8:9], vcc, s[2:3]
	s_and_saveexec_b64 s[2:3], s[8:9]
	s_cbranch_execz .LBB19_3
; %bb.5:                                ;   in Loop: Header=BB19_4 Depth=1
	global_load_dwordx4 v[8:11], v[4:5], off
	v_cndmask_b32_e64 v12, v0, v6, s[0:1]
	v_cndmask_b32_e64 v13, v1, v7, s[0:1]
	v_mul_lo_u32 v14, v13, s14
	v_mul_lo_u32 v15, v12, s15
	v_mad_u64_u32 v[12:13], s[8:9], v12, s14, 0
	v_cndmask_b32_e64 v7, v7, v1, s[0:1]
	v_cndmask_b32_e64 v6, v6, v0, s[0:1]
	v_add3_u32 v13, v13, v15, v14
	v_lshlrev_b64 v[12:13], 4, v[12:13]
	v_mov_b32_e32 v14, s13
	v_add_co_u32_e32 v12, vcc, s12, v12
	v_lshlrev_b64 v[6:7], 4, v[6:7]
	v_addc_co_u32_e32 v13, vcc, v14, v13, vcc
	v_add_co_u32_e32 v6, vcc, v12, v6
	v_addc_co_u32_e32 v7, vcc, v13, v7, vcc
	s_waitcnt vmcnt(0)
	global_store_dwordx4 v[6:7], v[8:11], off
	s_branch .LBB19_3
.LBB19_6:
	s_endpgm
	.section	.rodata,"a",@progbits
	.p2align	6, 0x0
	.amdhsa_kernel _ZN9rocsparseL16ell2dense_kernelILi16ELi64El21rocsparse_complex_numIdEEEv21rocsparse_index_base_T1_S4_S4_PKT2_PKS4_PS5_l16rocsparse_order_
		.amdhsa_group_segment_fixed_size 0
		.amdhsa_private_segment_fixed_size 0
		.amdhsa_kernarg_size 68
		.amdhsa_user_sgpr_count 6
		.amdhsa_user_sgpr_private_segment_buffer 1
		.amdhsa_user_sgpr_dispatch_ptr 0
		.amdhsa_user_sgpr_queue_ptr 0
		.amdhsa_user_sgpr_kernarg_segment_ptr 1
		.amdhsa_user_sgpr_dispatch_id 0
		.amdhsa_user_sgpr_flat_scratch_init 0
		.amdhsa_user_sgpr_private_segment_size 0
		.amdhsa_uses_dynamic_stack 0
		.amdhsa_system_sgpr_private_segment_wavefront_offset 0
		.amdhsa_system_sgpr_workgroup_id_x 1
		.amdhsa_system_sgpr_workgroup_id_y 0
		.amdhsa_system_sgpr_workgroup_id_z 0
		.amdhsa_system_sgpr_workgroup_info 0
		.amdhsa_system_vgpr_workitem_id 0
		.amdhsa_next_free_vgpr 16
		.amdhsa_next_free_sgpr 20
		.amdhsa_reserve_vcc 1
		.amdhsa_reserve_flat_scratch 0
		.amdhsa_float_round_mode_32 0
		.amdhsa_float_round_mode_16_64 0
		.amdhsa_float_denorm_mode_32 3
		.amdhsa_float_denorm_mode_16_64 3
		.amdhsa_dx10_clamp 1
		.amdhsa_ieee_mode 1
		.amdhsa_fp16_overflow 0
		.amdhsa_exception_fp_ieee_invalid_op 0
		.amdhsa_exception_fp_denorm_src 0
		.amdhsa_exception_fp_ieee_div_zero 0
		.amdhsa_exception_fp_ieee_overflow 0
		.amdhsa_exception_fp_ieee_underflow 0
		.amdhsa_exception_fp_ieee_inexact 0
		.amdhsa_exception_int_div_zero 0
	.end_amdhsa_kernel
	.section	.text._ZN9rocsparseL16ell2dense_kernelILi16ELi64El21rocsparse_complex_numIdEEEv21rocsparse_index_base_T1_S4_S4_PKT2_PKS4_PS5_l16rocsparse_order_,"axG",@progbits,_ZN9rocsparseL16ell2dense_kernelILi16ELi64El21rocsparse_complex_numIdEEEv21rocsparse_index_base_T1_S4_S4_PKT2_PKS4_PS5_l16rocsparse_order_,comdat
.Lfunc_end19:
	.size	_ZN9rocsparseL16ell2dense_kernelILi16ELi64El21rocsparse_complex_numIdEEEv21rocsparse_index_base_T1_S4_S4_PKT2_PKS4_PS5_l16rocsparse_order_, .Lfunc_end19-_ZN9rocsparseL16ell2dense_kernelILi16ELi64El21rocsparse_complex_numIdEEEv21rocsparse_index_base_T1_S4_S4_PKT2_PKS4_PS5_l16rocsparse_order_
                                        ; -- End function
	.set _ZN9rocsparseL16ell2dense_kernelILi16ELi64El21rocsparse_complex_numIdEEEv21rocsparse_index_base_T1_S4_S4_PKT2_PKS4_PS5_l16rocsparse_order_.num_vgpr, 16
	.set _ZN9rocsparseL16ell2dense_kernelILi16ELi64El21rocsparse_complex_numIdEEEv21rocsparse_index_base_T1_S4_S4_PKT2_PKS4_PS5_l16rocsparse_order_.num_agpr, 0
	.set _ZN9rocsparseL16ell2dense_kernelILi16ELi64El21rocsparse_complex_numIdEEEv21rocsparse_index_base_T1_S4_S4_PKT2_PKS4_PS5_l16rocsparse_order_.numbered_sgpr, 20
	.set _ZN9rocsparseL16ell2dense_kernelILi16ELi64El21rocsparse_complex_numIdEEEv21rocsparse_index_base_T1_S4_S4_PKT2_PKS4_PS5_l16rocsparse_order_.num_named_barrier, 0
	.set _ZN9rocsparseL16ell2dense_kernelILi16ELi64El21rocsparse_complex_numIdEEEv21rocsparse_index_base_T1_S4_S4_PKT2_PKS4_PS5_l16rocsparse_order_.private_seg_size, 0
	.set _ZN9rocsparseL16ell2dense_kernelILi16ELi64El21rocsparse_complex_numIdEEEv21rocsparse_index_base_T1_S4_S4_PKT2_PKS4_PS5_l16rocsparse_order_.uses_vcc, 1
	.set _ZN9rocsparseL16ell2dense_kernelILi16ELi64El21rocsparse_complex_numIdEEEv21rocsparse_index_base_T1_S4_S4_PKT2_PKS4_PS5_l16rocsparse_order_.uses_flat_scratch, 0
	.set _ZN9rocsparseL16ell2dense_kernelILi16ELi64El21rocsparse_complex_numIdEEEv21rocsparse_index_base_T1_S4_S4_PKT2_PKS4_PS5_l16rocsparse_order_.has_dyn_sized_stack, 0
	.set _ZN9rocsparseL16ell2dense_kernelILi16ELi64El21rocsparse_complex_numIdEEEv21rocsparse_index_base_T1_S4_S4_PKT2_PKS4_PS5_l16rocsparse_order_.has_recursion, 0
	.set _ZN9rocsparseL16ell2dense_kernelILi16ELi64El21rocsparse_complex_numIdEEEv21rocsparse_index_base_T1_S4_S4_PKT2_PKS4_PS5_l16rocsparse_order_.has_indirect_call, 0
	.section	.AMDGPU.csdata,"",@progbits
; Kernel info:
; codeLenInByte = 408
; TotalNumSgprs: 24
; NumVgprs: 16
; ScratchSize: 0
; MemoryBound: 0
; FloatMode: 240
; IeeeMode: 1
; LDSByteSize: 0 bytes/workgroup (compile time only)
; SGPRBlocks: 2
; VGPRBlocks: 3
; NumSGPRsForWavesPerEU: 24
; NumVGPRsForWavesPerEU: 16
; Occupancy: 10
; WaveLimiterHint : 1
; COMPUTE_PGM_RSRC2:SCRATCH_EN: 0
; COMPUTE_PGM_RSRC2:USER_SGPR: 6
; COMPUTE_PGM_RSRC2:TRAP_HANDLER: 0
; COMPUTE_PGM_RSRC2:TGID_X_EN: 1
; COMPUTE_PGM_RSRC2:TGID_Y_EN: 0
; COMPUTE_PGM_RSRC2:TGID_Z_EN: 0
; COMPUTE_PGM_RSRC2:TIDIG_COMP_CNT: 0
	.section	.AMDGPU.gpr_maximums,"",@progbits
	.set amdgpu.max_num_vgpr, 0
	.set amdgpu.max_num_agpr, 0
	.set amdgpu.max_num_sgpr, 0
	.section	.AMDGPU.csdata,"",@progbits
	.type	__hip_cuid_77b0ee8f06da1bdb,@object ; @__hip_cuid_77b0ee8f06da1bdb
	.section	.bss,"aw",@nobits
	.globl	__hip_cuid_77b0ee8f06da1bdb
__hip_cuid_77b0ee8f06da1bdb:
	.byte	0                               ; 0x0
	.size	__hip_cuid_77b0ee8f06da1bdb, 1

	.ident	"AMD clang version 22.0.0git (https://github.com/RadeonOpenCompute/llvm-project roc-7.2.4 26084 f58b06dce1f9c15707c5f808fd002e18c2accf7e)"
	.section	".note.GNU-stack","",@progbits
	.addrsig
	.addrsig_sym __hip_cuid_77b0ee8f06da1bdb
	.amdgpu_metadata
---
amdhsa.kernels:
  - .args:
      - .offset:         0
        .size:           4
        .value_kind:     by_value
      - .offset:         4
        .size:           4
        .value_kind:     by_value
      - .offset:         8
        .size:           4
        .value_kind:     by_value
      - .offset:         12
        .size:           4
        .value_kind:     by_value
      - .actual_access:  read_only
        .address_space:  global
        .offset:         16
        .size:           8
        .value_kind:     global_buffer
      - .actual_access:  read_only
        .address_space:  global
        .offset:         24
        .size:           8
        .value_kind:     global_buffer
      - .actual_access:  write_only
        .address_space:  global
        .offset:         32
        .size:           8
        .value_kind:     global_buffer
      - .offset:         40
        .size:           8
        .value_kind:     by_value
      - .offset:         48
        .size:           4
        .value_kind:     by_value
    .group_segment_fixed_size: 0
    .kernarg_segment_align: 8
    .kernarg_segment_size: 52
    .language:       OpenCL C
    .language_version:
      - 2
      - 0
    .max_flat_workgroup_size: 512
    .name:           _ZN9rocsparseL16ell2dense_kernelILi16ELi32EiDF16_EEv21rocsparse_index_base_T1_S2_S2_PKT2_PKS2_PS3_l16rocsparse_order_
    .private_segment_fixed_size: 0
    .sgpr_count:     24
    .sgpr_spill_count: 0
    .symbol:         _ZN9rocsparseL16ell2dense_kernelILi16ELi32EiDF16_EEv21rocsparse_index_base_T1_S2_S2_PKT2_PKS2_PS3_l16rocsparse_order_.kd
    .uniform_work_group_size: 1
    .uses_dynamic_stack: false
    .vgpr_count:     10
    .vgpr_spill_count: 0
    .wavefront_size: 64
  - .args:
      - .offset:         0
        .size:           4
        .value_kind:     by_value
      - .offset:         4
        .size:           4
        .value_kind:     by_value
      - .offset:         8
        .size:           4
        .value_kind:     by_value
      - .offset:         12
        .size:           4
        .value_kind:     by_value
      - .actual_access:  read_only
        .address_space:  global
        .offset:         16
        .size:           8
        .value_kind:     global_buffer
      - .actual_access:  read_only
        .address_space:  global
        .offset:         24
        .size:           8
        .value_kind:     global_buffer
      - .actual_access:  write_only
        .address_space:  global
        .offset:         32
        .size:           8
        .value_kind:     global_buffer
      - .offset:         40
        .size:           8
        .value_kind:     by_value
      - .offset:         48
        .size:           4
        .value_kind:     by_value
    .group_segment_fixed_size: 0
    .kernarg_segment_align: 8
    .kernarg_segment_size: 52
    .language:       OpenCL C
    .language_version:
      - 2
      - 0
    .max_flat_workgroup_size: 1024
    .name:           _ZN9rocsparseL16ell2dense_kernelILi16ELi64EiDF16_EEv21rocsparse_index_base_T1_S2_S2_PKT2_PKS2_PS3_l16rocsparse_order_
    .private_segment_fixed_size: 0
    .sgpr_count:     24
    .sgpr_spill_count: 0
    .symbol:         _ZN9rocsparseL16ell2dense_kernelILi16ELi64EiDF16_EEv21rocsparse_index_base_T1_S2_S2_PKT2_PKS2_PS3_l16rocsparse_order_.kd
    .uniform_work_group_size: 1
    .uses_dynamic_stack: false
    .vgpr_count:     10
    .vgpr_spill_count: 0
    .wavefront_size: 64
  - .args:
      - .offset:         0
        .size:           4
        .value_kind:     by_value
      - .offset:         4
        .size:           4
        .value_kind:     by_value
      - .offset:         8
        .size:           4
        .value_kind:     by_value
      - .offset:         12
        .size:           4
        .value_kind:     by_value
      - .actual_access:  read_only
        .address_space:  global
        .offset:         16
        .size:           8
        .value_kind:     global_buffer
      - .actual_access:  read_only
        .address_space:  global
        .offset:         24
        .size:           8
        .value_kind:     global_buffer
      - .actual_access:  write_only
        .address_space:  global
        .offset:         32
        .size:           8
        .value_kind:     global_buffer
      - .offset:         40
        .size:           8
        .value_kind:     by_value
      - .offset:         48
        .size:           4
        .value_kind:     by_value
    .group_segment_fixed_size: 0
    .kernarg_segment_align: 8
    .kernarg_segment_size: 52
    .language:       OpenCL C
    .language_version:
      - 2
      - 0
    .max_flat_workgroup_size: 512
    .name:           _ZN9rocsparseL16ell2dense_kernelILi16ELi32EifEEv21rocsparse_index_base_T1_S2_S2_PKT2_PKS2_PS3_l16rocsparse_order_
    .private_segment_fixed_size: 0
    .sgpr_count:     24
    .sgpr_spill_count: 0
    .symbol:         _ZN9rocsparseL16ell2dense_kernelILi16ELi32EifEEv21rocsparse_index_base_T1_S2_S2_PKT2_PKS2_PS3_l16rocsparse_order_.kd
    .uniform_work_group_size: 1
    .uses_dynamic_stack: false
    .vgpr_count:     10
    .vgpr_spill_count: 0
    .wavefront_size: 64
  - .args:
      - .offset:         0
        .size:           4
        .value_kind:     by_value
      - .offset:         4
        .size:           4
        .value_kind:     by_value
      - .offset:         8
        .size:           4
        .value_kind:     by_value
      - .offset:         12
        .size:           4
        .value_kind:     by_value
      - .actual_access:  read_only
        .address_space:  global
        .offset:         16
        .size:           8
        .value_kind:     global_buffer
      - .actual_access:  read_only
        .address_space:  global
        .offset:         24
        .size:           8
        .value_kind:     global_buffer
      - .actual_access:  write_only
        .address_space:  global
        .offset:         32
        .size:           8
        .value_kind:     global_buffer
      - .offset:         40
        .size:           8
        .value_kind:     by_value
      - .offset:         48
        .size:           4
        .value_kind:     by_value
    .group_segment_fixed_size: 0
    .kernarg_segment_align: 8
    .kernarg_segment_size: 52
    .language:       OpenCL C
    .language_version:
      - 2
      - 0
    .max_flat_workgroup_size: 1024
    .name:           _ZN9rocsparseL16ell2dense_kernelILi16ELi64EifEEv21rocsparse_index_base_T1_S2_S2_PKT2_PKS2_PS3_l16rocsparse_order_
    .private_segment_fixed_size: 0
    .sgpr_count:     24
    .sgpr_spill_count: 0
    .symbol:         _ZN9rocsparseL16ell2dense_kernelILi16ELi64EifEEv21rocsparse_index_base_T1_S2_S2_PKT2_PKS2_PS3_l16rocsparse_order_.kd
    .uniform_work_group_size: 1
    .uses_dynamic_stack: false
    .vgpr_count:     10
    .vgpr_spill_count: 0
    .wavefront_size: 64
  - .args:
      - .offset:         0
        .size:           4
        .value_kind:     by_value
      - .offset:         4
        .size:           4
        .value_kind:     by_value
      - .offset:         8
        .size:           4
        .value_kind:     by_value
      - .offset:         12
        .size:           4
        .value_kind:     by_value
      - .actual_access:  read_only
        .address_space:  global
        .offset:         16
        .size:           8
        .value_kind:     global_buffer
      - .actual_access:  read_only
        .address_space:  global
        .offset:         24
        .size:           8
        .value_kind:     global_buffer
      - .actual_access:  write_only
        .address_space:  global
        .offset:         32
        .size:           8
        .value_kind:     global_buffer
      - .offset:         40
        .size:           8
        .value_kind:     by_value
      - .offset:         48
        .size:           4
        .value_kind:     by_value
    .group_segment_fixed_size: 0
    .kernarg_segment_align: 8
    .kernarg_segment_size: 52
    .language:       OpenCL C
    .language_version:
      - 2
      - 0
    .max_flat_workgroup_size: 512
    .name:           _ZN9rocsparseL16ell2dense_kernelILi16ELi32EidEEv21rocsparse_index_base_T1_S2_S2_PKT2_PKS2_PS3_l16rocsparse_order_
    .private_segment_fixed_size: 0
    .sgpr_count:     24
    .sgpr_spill_count: 0
    .symbol:         _ZN9rocsparseL16ell2dense_kernelILi16ELi32EidEEv21rocsparse_index_base_T1_S2_S2_PKT2_PKS2_PS3_l16rocsparse_order_.kd
    .uniform_work_group_size: 1
    .uses_dynamic_stack: false
    .vgpr_count:     11
    .vgpr_spill_count: 0
    .wavefront_size: 64
  - .args:
      - .offset:         0
        .size:           4
        .value_kind:     by_value
      - .offset:         4
        .size:           4
        .value_kind:     by_value
      - .offset:         8
        .size:           4
        .value_kind:     by_value
      - .offset:         12
        .size:           4
        .value_kind:     by_value
      - .actual_access:  read_only
        .address_space:  global
        .offset:         16
        .size:           8
        .value_kind:     global_buffer
      - .actual_access:  read_only
        .address_space:  global
        .offset:         24
        .size:           8
        .value_kind:     global_buffer
      - .actual_access:  write_only
        .address_space:  global
        .offset:         32
        .size:           8
        .value_kind:     global_buffer
      - .offset:         40
        .size:           8
        .value_kind:     by_value
      - .offset:         48
        .size:           4
        .value_kind:     by_value
    .group_segment_fixed_size: 0
    .kernarg_segment_align: 8
    .kernarg_segment_size: 52
    .language:       OpenCL C
    .language_version:
      - 2
      - 0
    .max_flat_workgroup_size: 1024
    .name:           _ZN9rocsparseL16ell2dense_kernelILi16ELi64EidEEv21rocsparse_index_base_T1_S2_S2_PKT2_PKS2_PS3_l16rocsparse_order_
    .private_segment_fixed_size: 0
    .sgpr_count:     24
    .sgpr_spill_count: 0
    .symbol:         _ZN9rocsparseL16ell2dense_kernelILi16ELi64EidEEv21rocsparse_index_base_T1_S2_S2_PKT2_PKS2_PS3_l16rocsparse_order_.kd
    .uniform_work_group_size: 1
    .uses_dynamic_stack: false
    .vgpr_count:     11
    .vgpr_spill_count: 0
    .wavefront_size: 64
  - .args:
      - .offset:         0
        .size:           4
        .value_kind:     by_value
      - .offset:         4
        .size:           4
        .value_kind:     by_value
      - .offset:         8
        .size:           4
        .value_kind:     by_value
      - .offset:         12
        .size:           4
        .value_kind:     by_value
      - .actual_access:  read_only
        .address_space:  global
        .offset:         16
        .size:           8
        .value_kind:     global_buffer
      - .actual_access:  read_only
        .address_space:  global
        .offset:         24
        .size:           8
        .value_kind:     global_buffer
      - .actual_access:  write_only
        .address_space:  global
        .offset:         32
        .size:           8
        .value_kind:     global_buffer
      - .offset:         40
        .size:           8
        .value_kind:     by_value
      - .offset:         48
        .size:           4
        .value_kind:     by_value
    .group_segment_fixed_size: 0
    .kernarg_segment_align: 8
    .kernarg_segment_size: 52
    .language:       OpenCL C
    .language_version:
      - 2
      - 0
    .max_flat_workgroup_size: 512
    .name:           _ZN9rocsparseL16ell2dense_kernelILi16ELi32Ei21rocsparse_complex_numIfEEEv21rocsparse_index_base_T1_S4_S4_PKT2_PKS4_PS5_l16rocsparse_order_
    .private_segment_fixed_size: 0
    .sgpr_count:     24
    .sgpr_spill_count: 0
    .symbol:         _ZN9rocsparseL16ell2dense_kernelILi16ELi32Ei21rocsparse_complex_numIfEEEv21rocsparse_index_base_T1_S4_S4_PKT2_PKS4_PS5_l16rocsparse_order_.kd
    .uniform_work_group_size: 1
    .uses_dynamic_stack: false
    .vgpr_count:     11
    .vgpr_spill_count: 0
    .wavefront_size: 64
  - .args:
      - .offset:         0
        .size:           4
        .value_kind:     by_value
      - .offset:         4
        .size:           4
        .value_kind:     by_value
      - .offset:         8
        .size:           4
        .value_kind:     by_value
      - .offset:         12
        .size:           4
        .value_kind:     by_value
      - .actual_access:  read_only
        .address_space:  global
        .offset:         16
        .size:           8
        .value_kind:     global_buffer
      - .actual_access:  read_only
        .address_space:  global
        .offset:         24
        .size:           8
        .value_kind:     global_buffer
      - .actual_access:  write_only
        .address_space:  global
        .offset:         32
        .size:           8
        .value_kind:     global_buffer
      - .offset:         40
        .size:           8
        .value_kind:     by_value
      - .offset:         48
        .size:           4
        .value_kind:     by_value
    .group_segment_fixed_size: 0
    .kernarg_segment_align: 8
    .kernarg_segment_size: 52
    .language:       OpenCL C
    .language_version:
      - 2
      - 0
    .max_flat_workgroup_size: 1024
    .name:           _ZN9rocsparseL16ell2dense_kernelILi16ELi64Ei21rocsparse_complex_numIfEEEv21rocsparse_index_base_T1_S4_S4_PKT2_PKS4_PS5_l16rocsparse_order_
    .private_segment_fixed_size: 0
    .sgpr_count:     24
    .sgpr_spill_count: 0
    .symbol:         _ZN9rocsparseL16ell2dense_kernelILi16ELi64Ei21rocsparse_complex_numIfEEEv21rocsparse_index_base_T1_S4_S4_PKT2_PKS4_PS5_l16rocsparse_order_.kd
    .uniform_work_group_size: 1
    .uses_dynamic_stack: false
    .vgpr_count:     11
    .vgpr_spill_count: 0
    .wavefront_size: 64
  - .args:
      - .offset:         0
        .size:           4
        .value_kind:     by_value
      - .offset:         4
        .size:           4
        .value_kind:     by_value
      - .offset:         8
        .size:           4
        .value_kind:     by_value
      - .offset:         12
        .size:           4
        .value_kind:     by_value
      - .actual_access:  read_only
        .address_space:  global
        .offset:         16
        .size:           8
        .value_kind:     global_buffer
      - .actual_access:  read_only
        .address_space:  global
        .offset:         24
        .size:           8
        .value_kind:     global_buffer
      - .actual_access:  write_only
        .address_space:  global
        .offset:         32
        .size:           8
        .value_kind:     global_buffer
      - .offset:         40
        .size:           8
        .value_kind:     by_value
      - .offset:         48
        .size:           4
        .value_kind:     by_value
    .group_segment_fixed_size: 0
    .kernarg_segment_align: 8
    .kernarg_segment_size: 52
    .language:       OpenCL C
    .language_version:
      - 2
      - 0
    .max_flat_workgroup_size: 512
    .name:           _ZN9rocsparseL16ell2dense_kernelILi16ELi32Ei21rocsparse_complex_numIdEEEv21rocsparse_index_base_T1_S4_S4_PKT2_PKS4_PS5_l16rocsparse_order_
    .private_segment_fixed_size: 0
    .sgpr_count:     24
    .sgpr_spill_count: 0
    .symbol:         _ZN9rocsparseL16ell2dense_kernelILi16ELi32Ei21rocsparse_complex_numIdEEEv21rocsparse_index_base_T1_S4_S4_PKT2_PKS4_PS5_l16rocsparse_order_.kd
    .uniform_work_group_size: 1
    .uses_dynamic_stack: false
    .vgpr_count:     13
    .vgpr_spill_count: 0
    .wavefront_size: 64
  - .args:
      - .offset:         0
        .size:           4
        .value_kind:     by_value
      - .offset:         4
        .size:           4
        .value_kind:     by_value
      - .offset:         8
        .size:           4
        .value_kind:     by_value
      - .offset:         12
        .size:           4
        .value_kind:     by_value
      - .actual_access:  read_only
        .address_space:  global
        .offset:         16
        .size:           8
        .value_kind:     global_buffer
      - .actual_access:  read_only
        .address_space:  global
        .offset:         24
        .size:           8
        .value_kind:     global_buffer
      - .actual_access:  write_only
        .address_space:  global
        .offset:         32
        .size:           8
        .value_kind:     global_buffer
      - .offset:         40
        .size:           8
        .value_kind:     by_value
      - .offset:         48
        .size:           4
        .value_kind:     by_value
    .group_segment_fixed_size: 0
    .kernarg_segment_align: 8
    .kernarg_segment_size: 52
    .language:       OpenCL C
    .language_version:
      - 2
      - 0
    .max_flat_workgroup_size: 1024
    .name:           _ZN9rocsparseL16ell2dense_kernelILi16ELi64Ei21rocsparse_complex_numIdEEEv21rocsparse_index_base_T1_S4_S4_PKT2_PKS4_PS5_l16rocsparse_order_
    .private_segment_fixed_size: 0
    .sgpr_count:     24
    .sgpr_spill_count: 0
    .symbol:         _ZN9rocsparseL16ell2dense_kernelILi16ELi64Ei21rocsparse_complex_numIdEEEv21rocsparse_index_base_T1_S4_S4_PKT2_PKS4_PS5_l16rocsparse_order_.kd
    .uniform_work_group_size: 1
    .uses_dynamic_stack: false
    .vgpr_count:     13
    .vgpr_spill_count: 0
    .wavefront_size: 64
  - .args:
      - .offset:         0
        .size:           4
        .value_kind:     by_value
      - .offset:         8
        .size:           8
        .value_kind:     by_value
      - .offset:         16
        .size:           8
        .value_kind:     by_value
      - .offset:         24
        .size:           8
        .value_kind:     by_value
      - .actual_access:  read_only
        .address_space:  global
        .offset:         32
        .size:           8
        .value_kind:     global_buffer
      - .actual_access:  read_only
        .address_space:  global
        .offset:         40
        .size:           8
        .value_kind:     global_buffer
      - .actual_access:  write_only
        .address_space:  global
        .offset:         48
        .size:           8
        .value_kind:     global_buffer
      - .offset:         56
        .size:           8
        .value_kind:     by_value
      - .offset:         64
        .size:           4
        .value_kind:     by_value
    .group_segment_fixed_size: 0
    .kernarg_segment_align: 8
    .kernarg_segment_size: 68
    .language:       OpenCL C
    .language_version:
      - 2
      - 0
    .max_flat_workgroup_size: 512
    .name:           _ZN9rocsparseL16ell2dense_kernelILi16ELi32ElDF16_EEv21rocsparse_index_base_T1_S2_S2_PKT2_PKS2_PS3_l16rocsparse_order_
    .private_segment_fixed_size: 0
    .sgpr_count:     24
    .sgpr_spill_count: 0
    .symbol:         _ZN9rocsparseL16ell2dense_kernelILi16ELi32ElDF16_EEv21rocsparse_index_base_T1_S2_S2_PKT2_PKS2_PS3_l16rocsparse_order_.kd
    .uniform_work_group_size: 1
    .uses_dynamic_stack: false
    .vgpr_count:     13
    .vgpr_spill_count: 0
    .wavefront_size: 64
  - .args:
      - .offset:         0
        .size:           4
        .value_kind:     by_value
      - .offset:         8
        .size:           8
        .value_kind:     by_value
      - .offset:         16
        .size:           8
        .value_kind:     by_value
      - .offset:         24
        .size:           8
        .value_kind:     by_value
      - .actual_access:  read_only
        .address_space:  global
        .offset:         32
        .size:           8
        .value_kind:     global_buffer
      - .actual_access:  read_only
        .address_space:  global
        .offset:         40
        .size:           8
        .value_kind:     global_buffer
      - .actual_access:  write_only
        .address_space:  global
        .offset:         48
        .size:           8
        .value_kind:     global_buffer
      - .offset:         56
        .size:           8
        .value_kind:     by_value
      - .offset:         64
        .size:           4
        .value_kind:     by_value
    .group_segment_fixed_size: 0
    .kernarg_segment_align: 8
    .kernarg_segment_size: 68
    .language:       OpenCL C
    .language_version:
      - 2
      - 0
    .max_flat_workgroup_size: 1024
    .name:           _ZN9rocsparseL16ell2dense_kernelILi16ELi64ElDF16_EEv21rocsparse_index_base_T1_S2_S2_PKT2_PKS2_PS3_l16rocsparse_order_
    .private_segment_fixed_size: 0
    .sgpr_count:     24
    .sgpr_spill_count: 0
    .symbol:         _ZN9rocsparseL16ell2dense_kernelILi16ELi64ElDF16_EEv21rocsparse_index_base_T1_S2_S2_PKT2_PKS2_PS3_l16rocsparse_order_.kd
    .uniform_work_group_size: 1
    .uses_dynamic_stack: false
    .vgpr_count:     13
    .vgpr_spill_count: 0
    .wavefront_size: 64
  - .args:
      - .offset:         0
        .size:           4
        .value_kind:     by_value
      - .offset:         8
        .size:           8
        .value_kind:     by_value
      - .offset:         16
        .size:           8
        .value_kind:     by_value
      - .offset:         24
        .size:           8
        .value_kind:     by_value
      - .actual_access:  read_only
        .address_space:  global
        .offset:         32
        .size:           8
        .value_kind:     global_buffer
      - .actual_access:  read_only
        .address_space:  global
        .offset:         40
        .size:           8
        .value_kind:     global_buffer
      - .actual_access:  write_only
        .address_space:  global
        .offset:         48
        .size:           8
        .value_kind:     global_buffer
      - .offset:         56
        .size:           8
        .value_kind:     by_value
      - .offset:         64
        .size:           4
        .value_kind:     by_value
    .group_segment_fixed_size: 0
    .kernarg_segment_align: 8
    .kernarg_segment_size: 68
    .language:       OpenCL C
    .language_version:
      - 2
      - 0
    .max_flat_workgroup_size: 512
    .name:           _ZN9rocsparseL16ell2dense_kernelILi16ELi32ElfEEv21rocsparse_index_base_T1_S2_S2_PKT2_PKS2_PS3_l16rocsparse_order_
    .private_segment_fixed_size: 0
    .sgpr_count:     24
    .sgpr_spill_count: 0
    .symbol:         _ZN9rocsparseL16ell2dense_kernelILi16ELi32ElfEEv21rocsparse_index_base_T1_S2_S2_PKT2_PKS2_PS3_l16rocsparse_order_.kd
    .uniform_work_group_size: 1
    .uses_dynamic_stack: false
    .vgpr_count:     13
    .vgpr_spill_count: 0
    .wavefront_size: 64
  - .args:
      - .offset:         0
        .size:           4
        .value_kind:     by_value
      - .offset:         8
        .size:           8
        .value_kind:     by_value
      - .offset:         16
        .size:           8
        .value_kind:     by_value
      - .offset:         24
        .size:           8
        .value_kind:     by_value
      - .actual_access:  read_only
        .address_space:  global
        .offset:         32
        .size:           8
        .value_kind:     global_buffer
      - .actual_access:  read_only
        .address_space:  global
        .offset:         40
        .size:           8
        .value_kind:     global_buffer
      - .actual_access:  write_only
        .address_space:  global
        .offset:         48
        .size:           8
        .value_kind:     global_buffer
      - .offset:         56
        .size:           8
        .value_kind:     by_value
      - .offset:         64
        .size:           4
        .value_kind:     by_value
    .group_segment_fixed_size: 0
    .kernarg_segment_align: 8
    .kernarg_segment_size: 68
    .language:       OpenCL C
    .language_version:
      - 2
      - 0
    .max_flat_workgroup_size: 1024
    .name:           _ZN9rocsparseL16ell2dense_kernelILi16ELi64ElfEEv21rocsparse_index_base_T1_S2_S2_PKT2_PKS2_PS3_l16rocsparse_order_
    .private_segment_fixed_size: 0
    .sgpr_count:     24
    .sgpr_spill_count: 0
    .symbol:         _ZN9rocsparseL16ell2dense_kernelILi16ELi64ElfEEv21rocsparse_index_base_T1_S2_S2_PKT2_PKS2_PS3_l16rocsparse_order_.kd
    .uniform_work_group_size: 1
    .uses_dynamic_stack: false
    .vgpr_count:     13
    .vgpr_spill_count: 0
    .wavefront_size: 64
  - .args:
      - .offset:         0
        .size:           4
        .value_kind:     by_value
      - .offset:         8
        .size:           8
        .value_kind:     by_value
      - .offset:         16
        .size:           8
        .value_kind:     by_value
      - .offset:         24
        .size:           8
        .value_kind:     by_value
      - .actual_access:  read_only
        .address_space:  global
        .offset:         32
        .size:           8
        .value_kind:     global_buffer
      - .actual_access:  read_only
        .address_space:  global
        .offset:         40
        .size:           8
        .value_kind:     global_buffer
      - .actual_access:  write_only
        .address_space:  global
        .offset:         48
        .size:           8
        .value_kind:     global_buffer
      - .offset:         56
        .size:           8
        .value_kind:     by_value
      - .offset:         64
        .size:           4
        .value_kind:     by_value
    .group_segment_fixed_size: 0
    .kernarg_segment_align: 8
    .kernarg_segment_size: 68
    .language:       OpenCL C
    .language_version:
      - 2
      - 0
    .max_flat_workgroup_size: 512
    .name:           _ZN9rocsparseL16ell2dense_kernelILi16ELi32EldEEv21rocsparse_index_base_T1_S2_S2_PKT2_PKS2_PS3_l16rocsparse_order_
    .private_segment_fixed_size: 0
    .sgpr_count:     24
    .sgpr_spill_count: 0
    .symbol:         _ZN9rocsparseL16ell2dense_kernelILi16ELi32EldEEv21rocsparse_index_base_T1_S2_S2_PKT2_PKS2_PS3_l16rocsparse_order_.kd
    .uniform_work_group_size: 1
    .uses_dynamic_stack: false
    .vgpr_count:     14
    .vgpr_spill_count: 0
    .wavefront_size: 64
  - .args:
      - .offset:         0
        .size:           4
        .value_kind:     by_value
      - .offset:         8
        .size:           8
        .value_kind:     by_value
      - .offset:         16
        .size:           8
        .value_kind:     by_value
      - .offset:         24
        .size:           8
        .value_kind:     by_value
      - .actual_access:  read_only
        .address_space:  global
        .offset:         32
        .size:           8
        .value_kind:     global_buffer
      - .actual_access:  read_only
        .address_space:  global
        .offset:         40
        .size:           8
        .value_kind:     global_buffer
      - .actual_access:  write_only
        .address_space:  global
        .offset:         48
        .size:           8
        .value_kind:     global_buffer
      - .offset:         56
        .size:           8
        .value_kind:     by_value
      - .offset:         64
        .size:           4
        .value_kind:     by_value
    .group_segment_fixed_size: 0
    .kernarg_segment_align: 8
    .kernarg_segment_size: 68
    .language:       OpenCL C
    .language_version:
      - 2
      - 0
    .max_flat_workgroup_size: 1024
    .name:           _ZN9rocsparseL16ell2dense_kernelILi16ELi64EldEEv21rocsparse_index_base_T1_S2_S2_PKT2_PKS2_PS3_l16rocsparse_order_
    .private_segment_fixed_size: 0
    .sgpr_count:     24
    .sgpr_spill_count: 0
    .symbol:         _ZN9rocsparseL16ell2dense_kernelILi16ELi64EldEEv21rocsparse_index_base_T1_S2_S2_PKT2_PKS2_PS3_l16rocsparse_order_.kd
    .uniform_work_group_size: 1
    .uses_dynamic_stack: false
    .vgpr_count:     14
    .vgpr_spill_count: 0
    .wavefront_size: 64
  - .args:
      - .offset:         0
        .size:           4
        .value_kind:     by_value
      - .offset:         8
        .size:           8
        .value_kind:     by_value
      - .offset:         16
        .size:           8
        .value_kind:     by_value
      - .offset:         24
        .size:           8
        .value_kind:     by_value
      - .actual_access:  read_only
        .address_space:  global
        .offset:         32
        .size:           8
        .value_kind:     global_buffer
      - .actual_access:  read_only
        .address_space:  global
        .offset:         40
        .size:           8
        .value_kind:     global_buffer
      - .actual_access:  write_only
        .address_space:  global
        .offset:         48
        .size:           8
        .value_kind:     global_buffer
      - .offset:         56
        .size:           8
        .value_kind:     by_value
      - .offset:         64
        .size:           4
        .value_kind:     by_value
    .group_segment_fixed_size: 0
    .kernarg_segment_align: 8
    .kernarg_segment_size: 68
    .language:       OpenCL C
    .language_version:
      - 2
      - 0
    .max_flat_workgroup_size: 512
    .name:           _ZN9rocsparseL16ell2dense_kernelILi16ELi32El21rocsparse_complex_numIfEEEv21rocsparse_index_base_T1_S4_S4_PKT2_PKS4_PS5_l16rocsparse_order_
    .private_segment_fixed_size: 0
    .sgpr_count:     24
    .sgpr_spill_count: 0
    .symbol:         _ZN9rocsparseL16ell2dense_kernelILi16ELi32El21rocsparse_complex_numIfEEEv21rocsparse_index_base_T1_S4_S4_PKT2_PKS4_PS5_l16rocsparse_order_.kd
    .uniform_work_group_size: 1
    .uses_dynamic_stack: false
    .vgpr_count:     14
    .vgpr_spill_count: 0
    .wavefront_size: 64
  - .args:
      - .offset:         0
        .size:           4
        .value_kind:     by_value
      - .offset:         8
        .size:           8
        .value_kind:     by_value
      - .offset:         16
        .size:           8
        .value_kind:     by_value
      - .offset:         24
        .size:           8
        .value_kind:     by_value
      - .actual_access:  read_only
        .address_space:  global
        .offset:         32
        .size:           8
        .value_kind:     global_buffer
      - .actual_access:  read_only
        .address_space:  global
        .offset:         40
        .size:           8
        .value_kind:     global_buffer
      - .actual_access:  write_only
        .address_space:  global
        .offset:         48
        .size:           8
        .value_kind:     global_buffer
      - .offset:         56
        .size:           8
        .value_kind:     by_value
      - .offset:         64
        .size:           4
        .value_kind:     by_value
    .group_segment_fixed_size: 0
    .kernarg_segment_align: 8
    .kernarg_segment_size: 68
    .language:       OpenCL C
    .language_version:
      - 2
      - 0
    .max_flat_workgroup_size: 1024
    .name:           _ZN9rocsparseL16ell2dense_kernelILi16ELi64El21rocsparse_complex_numIfEEEv21rocsparse_index_base_T1_S4_S4_PKT2_PKS4_PS5_l16rocsparse_order_
    .private_segment_fixed_size: 0
    .sgpr_count:     24
    .sgpr_spill_count: 0
    .symbol:         _ZN9rocsparseL16ell2dense_kernelILi16ELi64El21rocsparse_complex_numIfEEEv21rocsparse_index_base_T1_S4_S4_PKT2_PKS4_PS5_l16rocsparse_order_.kd
    .uniform_work_group_size: 1
    .uses_dynamic_stack: false
    .vgpr_count:     14
    .vgpr_spill_count: 0
    .wavefront_size: 64
  - .args:
      - .offset:         0
        .size:           4
        .value_kind:     by_value
      - .offset:         8
        .size:           8
        .value_kind:     by_value
      - .offset:         16
        .size:           8
        .value_kind:     by_value
      - .offset:         24
        .size:           8
        .value_kind:     by_value
      - .actual_access:  read_only
        .address_space:  global
        .offset:         32
        .size:           8
        .value_kind:     global_buffer
      - .actual_access:  read_only
        .address_space:  global
        .offset:         40
        .size:           8
        .value_kind:     global_buffer
      - .actual_access:  write_only
        .address_space:  global
        .offset:         48
        .size:           8
        .value_kind:     global_buffer
      - .offset:         56
        .size:           8
        .value_kind:     by_value
      - .offset:         64
        .size:           4
        .value_kind:     by_value
    .group_segment_fixed_size: 0
    .kernarg_segment_align: 8
    .kernarg_segment_size: 68
    .language:       OpenCL C
    .language_version:
      - 2
      - 0
    .max_flat_workgroup_size: 512
    .name:           _ZN9rocsparseL16ell2dense_kernelILi16ELi32El21rocsparse_complex_numIdEEEv21rocsparse_index_base_T1_S4_S4_PKT2_PKS4_PS5_l16rocsparse_order_
    .private_segment_fixed_size: 0
    .sgpr_count:     24
    .sgpr_spill_count: 0
    .symbol:         _ZN9rocsparseL16ell2dense_kernelILi16ELi32El21rocsparse_complex_numIdEEEv21rocsparse_index_base_T1_S4_S4_PKT2_PKS4_PS5_l16rocsparse_order_.kd
    .uniform_work_group_size: 1
    .uses_dynamic_stack: false
    .vgpr_count:     16
    .vgpr_spill_count: 0
    .wavefront_size: 64
  - .args:
      - .offset:         0
        .size:           4
        .value_kind:     by_value
      - .offset:         8
        .size:           8
        .value_kind:     by_value
      - .offset:         16
        .size:           8
        .value_kind:     by_value
      - .offset:         24
        .size:           8
        .value_kind:     by_value
      - .actual_access:  read_only
        .address_space:  global
        .offset:         32
        .size:           8
        .value_kind:     global_buffer
      - .actual_access:  read_only
        .address_space:  global
        .offset:         40
        .size:           8
        .value_kind:     global_buffer
      - .actual_access:  write_only
        .address_space:  global
        .offset:         48
        .size:           8
        .value_kind:     global_buffer
      - .offset:         56
        .size:           8
        .value_kind:     by_value
      - .offset:         64
        .size:           4
        .value_kind:     by_value
    .group_segment_fixed_size: 0
    .kernarg_segment_align: 8
    .kernarg_segment_size: 68
    .language:       OpenCL C
    .language_version:
      - 2
      - 0
    .max_flat_workgroup_size: 1024
    .name:           _ZN9rocsparseL16ell2dense_kernelILi16ELi64El21rocsparse_complex_numIdEEEv21rocsparse_index_base_T1_S4_S4_PKT2_PKS4_PS5_l16rocsparse_order_
    .private_segment_fixed_size: 0
    .sgpr_count:     24
    .sgpr_spill_count: 0
    .symbol:         _ZN9rocsparseL16ell2dense_kernelILi16ELi64El21rocsparse_complex_numIdEEEv21rocsparse_index_base_T1_S4_S4_PKT2_PKS4_PS5_l16rocsparse_order_.kd
    .uniform_work_group_size: 1
    .uses_dynamic_stack: false
    .vgpr_count:     16
    .vgpr_spill_count: 0
    .wavefront_size: 64
amdhsa.target:   amdgcn-amd-amdhsa--gfx906
amdhsa.version:
  - 1
  - 2
...

	.end_amdgpu_metadata
